;; amdgpu-corpus repo=ROCm/rocFFT kind=compiled arch=gfx1201 opt=O3
	.text
	.amdgcn_target "amdgcn-amd-amdhsa--gfx1201"
	.amdhsa_code_object_version 6
	.protected	bluestein_single_fwd_len1700_dim1_dp_op_CI_CI ; -- Begin function bluestein_single_fwd_len1700_dim1_dp_op_CI_CI
	.globl	bluestein_single_fwd_len1700_dim1_dp_op_CI_CI
	.p2align	8
	.type	bluestein_single_fwd_len1700_dim1_dp_op_CI_CI,@function
bluestein_single_fwd_len1700_dim1_dp_op_CI_CI: ; @bluestein_single_fwd_len1700_dim1_dp_op_CI_CI
; %bb.0:
	s_load_b128 s[8:11], s[0:1], 0x28
	v_mul_u32_u24_e32 v1, 0x182, v0
	s_mov_b32 s2, exec_lo
	v_mov_b32_e32 v4, 0
	s_delay_alu instid0(VALU_DEP_2) | instskip(NEXT) | instid1(VALU_DEP_1)
	v_lshrrev_b32_e32 v1, 16, v1
	v_add_nc_u32_e32 v3, ttmp9, v1
	s_delay_alu instid0(VALU_DEP_1)
	v_mov_b32_e32 v2, v3
	scratch_store_b64 off, v[2:3], off      ; 8-byte Folded Spill
	s_wait_kmcnt 0x0
	v_cmpx_gt_u64_e64 s[8:9], v[3:4]
	s_cbranch_execz .LBB0_15
; %bb.1:
	s_clause 0x1
	s_load_b64 s[8:9], s[0:1], 0x0
	s_load_b64 s[12:13], s[0:1], 0x38
	v_mul_lo_u16 v1, 0xaa, v1
	s_delay_alu instid0(VALU_DEP_1) | instskip(NEXT) | instid1(VALU_DEP_1)
	v_sub_nc_u16 v0, v0, v1
	v_and_b32_e32 v164, 0xffff, v0
	v_cmp_gt_u16_e32 vcc_lo, 0x64, v0
	s_delay_alu instid0(VALU_DEP_2)
	v_lshlrev_b32_e32 v255, 4, v164
	s_and_saveexec_b32 s3, vcc_lo
	s_cbranch_execz .LBB0_3
; %bb.2:
	scratch_load_b64 v[0:1], off, off       ; 8-byte Folded Reload
	s_load_b64 s[4:5], s[0:1], 0x18
	s_wait_kmcnt 0x0
	s_load_b128 s[4:7], s[4:5], 0x0
	s_wait_kmcnt 0x0
	v_mad_co_u64_u32 v[32:33], null, s4, v164, 0
	s_wait_loadcnt 0x0
	s_delay_alu instid0(VALU_DEP_1) | instskip(NEXT) | instid1(VALU_DEP_1)
	v_dual_mov_b32 v1, v33 :: v_dual_mov_b32 v2, v0
	v_mad_co_u64_u32 v[16:17], null, s6, v2, 0
	s_delay_alu instid0(VALU_DEP_1) | instskip(NEXT) | instid1(VALU_DEP_1)
	v_mov_b32_e32 v0, v17
	v_mad_co_u64_u32 v[2:3], null, s7, v2, v[0:1]
	s_delay_alu instid0(VALU_DEP_1)
	v_mov_b32_e32 v17, v2
	v_mad_co_u64_u32 v[18:19], null, s5, v164, v[1:2]
	s_mul_u64 s[4:5], s[4:5], 0x640
	s_clause 0x3
	global_load_b128 v[0:3], v255, s[8:9]
	global_load_b128 v[4:7], v255, s[8:9] offset:1600
	global_load_b128 v[8:11], v255, s[8:9] offset:3200
	;; [unrolled: 1-line block ×3, first 2 shown]
	v_lshlrev_b64_e32 v[34:35], 4, v[16:17]
	v_mov_b32_e32 v33, v18
	s_clause 0x3
	global_load_b128 v[16:19], v255, s[8:9] offset:6400
	global_load_b128 v[20:23], v255, s[8:9] offset:8000
	;; [unrolled: 1-line block ×4, first 2 shown]
	v_add_co_u32 v42, s2, s10, v34
	s_delay_alu instid0(VALU_DEP_1)
	v_add_co_ci_u32_e64 v43, s2, s11, v35, s2
	v_lshlrev_b64_e32 v[40:41], 4, v[32:33]
	s_clause 0x1
	global_load_b128 v[32:35], v255, s[8:9] offset:12800
	global_load_b128 v[36:39], v255, s[8:9] offset:14400
	v_add_co_u32 v56, s2, v42, v40
	s_wait_alu 0xf1ff
	v_add_co_ci_u32_e64 v57, s2, v43, v41, s2
	s_clause 0x1
	global_load_b128 v[40:43], v255, s[8:9] offset:16000
	global_load_b128 v[44:47], v255, s[8:9] offset:17600
	s_wait_alu 0xfffe
	v_add_co_u32 v60, s2, v56, s4
	s_wait_alu 0xf1ff
	v_add_co_ci_u32_e64 v61, s2, s5, v57, s2
	s_clause 0x1
	global_load_b128 v[48:51], v255, s[8:9] offset:19200
	global_load_b128 v[52:55], v255, s[8:9] offset:20800
	v_add_co_u32 v64, s2, v60, s4
	s_wait_alu 0xf1ff
	v_add_co_ci_u32_e64 v65, s2, s5, v61, s2
	s_clause 0x1
	global_load_b128 v[56:59], v[56:57], off
	global_load_b128 v[60:63], v[60:61], off
	v_add_co_u32 v68, s2, v64, s4
	s_wait_alu 0xf1ff
	v_add_co_ci_u32_e64 v69, s2, s5, v65, s2
	s_delay_alu instid0(VALU_DEP_2) | instskip(SKIP_1) | instid1(VALU_DEP_2)
	v_add_co_u32 v72, s2, v68, s4
	s_wait_alu 0xf1ff
	v_add_co_ci_u32_e64 v73, s2, s5, v69, s2
	s_clause 0x1
	global_load_b128 v[64:67], v[64:65], off
	global_load_b128 v[68:71], v[68:69], off
	v_add_co_u32 v76, s2, v72, s4
	s_wait_alu 0xf1ff
	v_add_co_ci_u32_e64 v77, s2, s5, v73, s2
	global_load_b128 v[72:75], v[72:73], off
	v_add_co_u32 v80, s2, v76, s4
	s_wait_alu 0xf1ff
	v_add_co_ci_u32_e64 v81, s2, s5, v77, s2
	;; [unrolled: 4-line block ×12, first 2 shown]
	s_clause 0x1
	global_load_b128 v[116:119], v255, s[8:9] offset:22400
	global_load_b128 v[120:123], v255, s[8:9] offset:24000
	global_load_b128 v[124:127], v[124:125], off
	global_load_b128 v[128:131], v255, s[8:9] offset:25600
	global_load_b128 v[132:135], v[132:133], off
	s_wait_loadcnt 0x13
	v_mul_f64_e32 v[136:137], v[58:59], v[2:3]
	v_mul_f64_e32 v[2:3], v[56:57], v[2:3]
	s_wait_loadcnt 0x12
	v_mul_f64_e32 v[138:139], v[62:63], v[6:7]
	v_mul_f64_e32 v[6:7], v[60:61], v[6:7]
	s_wait_loadcnt 0x11
	v_mul_f64_e32 v[140:141], v[66:67], v[10:11]
	v_mul_f64_e32 v[10:11], v[64:65], v[10:11]
	s_wait_loadcnt 0x10
	v_mul_f64_e32 v[142:143], v[70:71], v[14:15]
	v_mul_f64_e32 v[14:15], v[68:69], v[14:15]
	s_wait_loadcnt 0xf
	v_mul_f64_e32 v[144:145], v[74:75], v[18:19]
	v_mul_f64_e32 v[18:19], v[72:73], v[18:19]
	s_wait_loadcnt 0xe
	v_mul_f64_e32 v[146:147], v[78:79], v[22:23]
	v_mul_f64_e32 v[22:23], v[76:77], v[22:23]
	s_wait_loadcnt 0xd
	v_mul_f64_e32 v[148:149], v[82:83], v[26:27]
	v_mul_f64_e32 v[26:27], v[80:81], v[26:27]
	s_wait_loadcnt 0xc
	v_mul_f64_e32 v[150:151], v[86:87], v[30:31]
	v_mul_f64_e32 v[30:31], v[84:85], v[30:31]
	s_wait_loadcnt 0xb
	v_mul_f64_e32 v[152:153], v[90:91], v[34:35]
	v_mul_f64_e32 v[34:35], v[88:89], v[34:35]
	s_wait_loadcnt 0xa
	v_mul_f64_e32 v[154:155], v[94:95], v[38:39]
	v_mul_f64_e32 v[38:39], v[92:93], v[38:39]
	s_wait_loadcnt 0x9
	v_mul_f64_e32 v[156:157], v[98:99], v[42:43]
	v_mul_f64_e32 v[42:43], v[96:97], v[42:43]
	s_wait_loadcnt 0x8
	v_mul_f64_e32 v[158:159], v[102:103], v[46:47]
	v_mul_f64_e32 v[46:47], v[100:101], v[46:47]
	s_wait_loadcnt 0x7
	v_mul_f64_e32 v[160:161], v[106:107], v[50:51]
	v_mul_f64_e32 v[50:51], v[104:105], v[50:51]
	s_wait_loadcnt 0x6
	v_mul_f64_e32 v[162:163], v[110:111], v[54:55]
	v_mul_f64_e32 v[165:166], v[108:109], v[54:55]
	v_fma_f64 v[54:55], v[56:57], v[0:1], v[136:137]
	v_fma_f64 v[56:57], v[58:59], v[0:1], -v[2:3]
	v_fma_f64 v[0:1], v[60:61], v[4:5], v[138:139]
	v_fma_f64 v[2:3], v[62:63], v[4:5], -v[6:7]
	s_wait_loadcnt 0x4
	v_mul_f64_e32 v[167:168], v[114:115], v[118:119]
	v_mul_f64_e32 v[118:119], v[112:113], v[118:119]
	s_wait_loadcnt 0x2
	v_mul_f64_e32 v[169:170], v[126:127], v[122:123]
	v_mul_f64_e32 v[122:123], v[124:125], v[122:123]
	s_wait_loadcnt 0x0
	v_mul_f64_e32 v[171:172], v[134:135], v[130:131]
	v_mul_f64_e32 v[130:131], v[132:133], v[130:131]
	v_fma_f64 v[4:5], v[64:65], v[8:9], v[140:141]
	v_fma_f64 v[6:7], v[66:67], v[8:9], -v[10:11]
	v_fma_f64 v[8:9], v[68:69], v[12:13], v[142:143]
	v_fma_f64 v[10:11], v[70:71], v[12:13], -v[14:15]
	;; [unrolled: 2-line block ×15, first 2 shown]
	ds_store_b128 v255, v[54:57]
	ds_store_b128 v255, v[0:3] offset:1600
	ds_store_b128 v255, v[4:7] offset:3200
	;; [unrolled: 1-line block ×16, first 2 shown]
.LBB0_3:
	s_or_b32 exec_lo, exec_lo, s3
	s_load_b64 s[2:3], s[0:1], 0x20
	global_wb scope:SCOPE_SE
	s_wait_storecnt_dscnt 0x0
	s_wait_kmcnt 0x0
	s_barrier_signal -1
	s_barrier_wait -1
	global_inv scope:SCOPE_SE
                                        ; implicit-def: $vgpr28_vgpr29
                                        ; implicit-def: $vgpr48_vgpr49
                                        ; implicit-def: $vgpr52_vgpr53
                                        ; implicit-def: $vgpr56_vgpr57
                                        ; implicit-def: $vgpr60_vgpr61
                                        ; implicit-def: $vgpr64_vgpr65
                                        ; implicit-def: $vgpr68_vgpr69
                                        ; implicit-def: $vgpr72_vgpr73
                                        ; implicit-def: $vgpr80_vgpr81
                                        ; implicit-def: $vgpr84_vgpr85
                                        ; implicit-def: $vgpr88_vgpr89
                                        ; implicit-def: $vgpr92_vgpr93
                                        ; implicit-def: $vgpr76_vgpr77
                                        ; implicit-def: $vgpr44_vgpr45
                                        ; implicit-def: $vgpr40_vgpr41
                                        ; implicit-def: $vgpr36_vgpr37
                                        ; implicit-def: $vgpr32_vgpr33
	s_and_saveexec_b32 s4, vcc_lo
	s_cbranch_execz .LBB0_5
; %bb.4:
	ds_load_b128 v[28:31], v255
	ds_load_b128 v[48:51], v255 offset:1600
	ds_load_b128 v[52:55], v255 offset:3200
	;; [unrolled: 1-line block ×16, first 2 shown]
.LBB0_5:
	s_wait_alu 0xfffe
	s_or_b32 exec_lo, exec_lo, s4
	s_wait_dscnt 0x0
	v_add_f64_e64 v[128:129], v[50:51], -v[34:35]
	v_add_f64_e64 v[142:143], v[54:55], -v[38:39]
	s_mov_b32 s14, 0x5d8e7cdc
	s_mov_b32 s20, 0x2a9d6da3
	s_mov_b32 s15, 0xbfd71e95
	s_mov_b32 s21, 0xbfe58eea
	v_add_f64_e32 v[124:125], v[48:49], v[32:33]
	v_add_f64_e64 v[156:157], v[52:53], -v[36:37]
	s_mov_b32 s6, 0x370991
	s_mov_b32 s40, 0x4363dd80
	;; [unrolled: 1-line block ×6, first 2 shown]
	v_add_f64_e32 v[96:97], v[52:53], v[36:37]
	s_mov_b32 s10, 0x75d4884
	s_mov_b32 s11, 0x3fe7a5f6
	v_add_f64_e64 v[171:172], v[48:49], -v[32:33]
	v_add_f64_e32 v[165:166], v[50:51], v[34:35]
	v_add_f64_e32 v[100:101], v[54:55], v[38:39]
	v_add_f64_e64 v[162:163], v[58:59], -v[42:43]
	s_mov_b32 s30, 0x7c9e640b
	s_mov_b32 s31, 0xbfeca52d
	v_add_f64_e32 v[104:105], v[56:57], v[40:41]
	s_mov_b32 s16, 0x2b2883cd
	s_mov_b32 s34, 0xeb564b22
	;; [unrolled: 1-line block ×4, first 2 shown]
	v_add_f64_e64 v[169:170], v[56:57], -v[40:41]
	v_add_f64_e32 v[112:113], v[58:59], v[42:43]
	s_mov_b32 s38, 0x6c9a05f6
	s_mov_b32 s39, 0xbfe9895b
	v_add_f64_e64 v[173:174], v[62:63], -v[46:47]
	v_add_f64_e32 v[108:109], v[60:61], v[44:45]
	s_mov_b32 s18, 0x3259b75e
	s_mov_b32 s19, 0x3fb79ee6
	v_add_f64_e64 v[175:176], v[60:61], -v[44:45]
	v_add_f64_e32 v[120:121], v[62:63], v[46:47]
	v_mul_f64_e32 v[0:1], s[14:15], v[128:129]
	v_mul_f64_e32 v[2:3], s[20:21], v[142:143]
	;; [unrolled: 1-line block ×5, first 2 shown]
	s_mov_b32 s44, 0xacd6c6b4
	s_mov_b32 s45, 0xbfc7851a
	v_mul_f64_e32 v[4:5], s[20:21], v[156:157]
	v_mul_f64_e32 v[8:9], s[34:35], v[156:157]
	v_add_f64_e64 v[177:178], v[66:67], -v[78:79]
	v_mul_f64_e32 v[14:15], s[44:45], v[142:143]
	s_mov_b32 s36, 0x923c349f
	s_mov_b32 s37, 0xbfeec746
	v_add_f64_e32 v[116:117], v[64:65], v[76:77]
	s_mov_b32 s22, 0xc61f0d01
	s_mov_b32 s23, 0xbfd183b1
	v_add_f64_e64 v[179:180], v[64:65], -v[76:77]
	v_mul_f64_e32 v[12:13], s[38:39], v[156:157]
	v_add_f64_e32 v[134:135], v[66:67], v[78:79]
	s_mov_b32 s47, 0x3feec746
	s_mov_b32 s46, s36
	v_add_f64_e64 v[181:182], v[70:71], -v[94:95]
	v_mul_f64_e32 v[22:23], s[46:47], v[142:143]
	;; [unrolled: 5-line block ×5, first 2 shown]
	v_add_f64_e32 v[152:153], v[74:75], v[90:91]
	s_clause 0x2
	scratch_store_b64 off, v[2:3], off offset:8
	scratch_store_b64 off, v[0:1], off offset:124
	;; [unrolled: 1-line block ×3, first 2 shown]
	s_wait_alu 0xfffe
	v_fma_f64 v[0:1], v[124:125], s[6:7], v[0:1]
	v_fma_f64 v[2:3], v[96:97], s[10:11], v[2:3]
	v_add_f64_e64 v[203:204], v[82:83], -v[86:87]
	scratch_store_b64 off, v[4:5], off offset:24 ; 8-byte Folded Spill
	v_fma_f64 v[4:5], v[100:101], s[10:11], -v[4:5]
	v_add_f64_e32 v[148:149], v[80:81], v[84:85]
	s_mov_b32 s28, 0x7faef3
	s_mov_b32 s29, 0xbfef7484
	v_add_f64_e64 v[209:210], v[80:81], -v[84:85]
	v_mul_f64_e32 v[24:25], s[46:47], v[156:157]
	v_add_f64_e32 v[158:159], v[82:83], v[86:87]
	v_mul_f64_e32 v[114:115], s[20:21], v[128:129]
	v_mul_f64_e32 v[126:127], s[20:21], v[171:172]
	s_mov_b32 s49, 0x3fd71e95
	s_mov_b32 s48, s14
	v_mul_f64_e32 v[132:133], s[30:31], v[128:129]
	v_mul_f64_e32 v[136:137], s[30:31], v[171:172]
	s_mov_b32 s55, 0x3fc7851a
	s_mov_b32 s54, s44
	;; [unrolled: 1-line block ×4, first 2 shown]
	v_mul_f64_e32 v[140:141], s[34:35], v[128:129]
	v_mul_f64_e32 v[217:218], s[14:15], v[183:184]
	;; [unrolled: 1-line block ×6, first 2 shown]
	s_mov_b32 s57, 0x3fe9895b
	s_mov_b32 s56, s38
	v_mul_f64_e32 v[150:151], s[36:37], v[128:129]
	v_fma_f64 v[18:19], v[96:97], s[26:27], v[18:19]
	v_mul_f64_e32 v[154:155], s[36:37], v[171:172]
	v_mul_f64_e32 v[215:216], s[30:31], v[175:176]
	;; [unrolled: 1-line block ×4, first 2 shown]
	s_mov_b32 s59, 0x3fefdd0d
	s_mov_b32 s58, s34
	v_mul_f64_e32 v[219:220], s[14:15], v[191:192]
	v_add_f64_e32 v[0:1], v[28:29], v[0:1]
	v_mul_f64_e32 v[227:228], s[58:59], v[181:182]
	v_mul_f64_e32 v[102:103], s[58:59], v[183:184]
	;; [unrolled: 1-line block ×27, first 2 shown]
	s_load_b64 s[4:5], s[0:1], 0x8
	scratch_store_b64 off, v[6:7], off offset:236 ; 8-byte Folded Spill
	v_fma_f64 v[6:7], v[96:97], s[18:19], v[6:7]
	scratch_store_b64 off, v[8:9], off offset:260 ; 8-byte Folded Spill
	v_fma_f64 v[8:9], v[100:101], s[18:19], -v[8:9]
	scratch_store_b64 off, v[14:15], off offset:372 ; 8-byte Folded Spill
	v_fma_f64 v[14:15], v[96:97], s[28:29], v[14:15]
	scratch_store_b64 off, v[10:11], off offset:308 ; 8-byte Folded Spill
	v_fma_f64 v[10:11], v[96:97], s[24:25], v[10:11]
	scratch_store_b64 off, v[12:13], off offset:364 ; 8-byte Folded Spill
	v_add_f64_e32 v[0:1], v[2:3], v[0:1]
	v_mul_f64_e32 v[2:3], s[14:15], v[171:172]
	v_fma_f64 v[12:13], v[100:101], s[24:25], -v[12:13]
	scratch_store_b64 off, v[16:17], off offset:436 ; 8-byte Folded Spill
	v_fma_f64 v[16:17], v[100:101], s[28:29], -v[16:17]
	scratch_store_b64 off, v[20:21], off offset:524 ; 8-byte Folded Spill
	;; [unrolled: 2-line block ×3, first 2 shown]
	v_fma_f64 v[22:23], v[96:97], s[22:23], v[22:23]
	scratch_store_b64 off, v[24:25], off offset:628 ; 8-byte Folded Spill
	v_fma_f64 v[24:25], v[100:101], s[22:23], -v[24:25]
	scratch_store_b64 off, v[26:27], off offset:556 ; 8-byte Folded Spill
	v_fma_f64 v[26:27], v[96:97], s[16:17], v[26:27]
	v_fma_f64 v[98:99], v[100:101], s[16:17], -v[213:214]
	scratch_store_b64 off, v[2:3], off offset:220 ; 8-byte Folded Spill
	v_fma_f64 v[2:3], v[165:166], s[6:7], -v[2:3]
	s_delay_alu instid0(VALU_DEP_1) | instskip(NEXT) | instid1(VALU_DEP_1)
	v_add_f64_e32 v[2:3], v[30:31], v[2:3]
	v_add_f64_e32 v[2:3], v[4:5], v[2:3]
	v_mul_f64_e32 v[4:5], s[30:31], v[162:163]
	scratch_store_b64 off, v[4:5], off offset:40 ; 8-byte Folded Spill
	v_fma_f64 v[4:5], v[104:105], s[16:17], v[4:5]
	s_delay_alu instid0(VALU_DEP_1) | instskip(SKIP_3) | instid1(VALU_DEP_1)
	v_add_f64_e32 v[0:1], v[4:5], v[0:1]
	v_mul_f64_e32 v[4:5], s[30:31], v[169:170]
	scratch_store_b64 off, v[4:5], off offset:72 ; 8-byte Folded Spill
	v_fma_f64 v[4:5], v[112:113], s[16:17], -v[4:5]
	v_add_f64_e32 v[2:3], v[4:5], v[2:3]
	v_mul_f64_e32 v[4:5], s[34:35], v[173:174]
	scratch_store_b64 off, v[4:5], off offset:56 ; 8-byte Folded Spill
	v_fma_f64 v[4:5], v[108:109], s[18:19], v[4:5]
	s_delay_alu instid0(VALU_DEP_1) | instskip(SKIP_3) | instid1(VALU_DEP_1)
	v_add_f64_e32 v[0:1], v[4:5], v[0:1]
	v_mul_f64_e32 v[4:5], s[34:35], v[175:176]
	scratch_store_b64 off, v[4:5], off offset:104 ; 8-byte Folded Spill
	v_fma_f64 v[4:5], v[120:121], s[18:19], -v[4:5]
	;; [unrolled: 9-line block ×6, first 2 shown]
	v_add_f64_e32 v[2:3], v[4:5], v[2:3]
	v_fma_f64 v[4:5], v[124:125], s[10:11], v[114:115]
	s_delay_alu instid0(VALU_DEP_1) | instskip(NEXT) | instid1(VALU_DEP_1)
	v_add_f64_e32 v[4:5], v[28:29], v[4:5]
	v_add_f64_e32 v[4:5], v[6:7], v[4:5]
	v_fma_f64 v[6:7], v[165:166], s[10:11], -v[126:127]
	s_delay_alu instid0(VALU_DEP_1) | instskip(NEXT) | instid1(VALU_DEP_1)
	v_add_f64_e32 v[6:7], v[30:31], v[6:7]
	v_add_f64_e32 v[6:7], v[8:9], v[6:7]
	v_mul_f64_e32 v[8:9], s[38:39], v[162:163]
	scratch_store_b64 off, v[8:9], off offset:244 ; 8-byte Folded Spill
	v_fma_f64 v[8:9], v[104:105], s[24:25], v[8:9]
	s_delay_alu instid0(VALU_DEP_1) | instskip(SKIP_3) | instid1(VALU_DEP_1)
	v_add_f64_e32 v[4:5], v[8:9], v[4:5]
	v_mul_f64_e32 v[8:9], s[38:39], v[169:170]
	scratch_store_b64 off, v[8:9], off offset:276 ; 8-byte Folded Spill
	v_fma_f64 v[8:9], v[112:113], s[24:25], -v[8:9]
	v_add_f64_e32 v[6:7], v[8:9], v[6:7]
	v_mul_f64_e32 v[8:9], s[44:45], v[173:174]
	scratch_store_b64 off, v[8:9], off offset:252 ; 8-byte Folded Spill
	v_fma_f64 v[8:9], v[108:109], s[28:29], v[8:9]
	s_delay_alu instid0(VALU_DEP_1) | instskip(SKIP_3) | instid1(VALU_DEP_1)
	v_add_f64_e32 v[4:5], v[8:9], v[4:5]
	v_mul_f64_e32 v[8:9], s[44:45], v[175:176]
	scratch_store_b64 off, v[8:9], off offset:300 ; 8-byte Folded Spill
	v_fma_f64 v[8:9], v[120:121], s[28:29], -v[8:9]
	;; [unrolled: 9-line block ×6, first 2 shown]
	v_add_f64_e32 v[6:7], v[8:9], v[6:7]
	v_fma_f64 v[8:9], v[124:125], s[16:17], v[132:133]
	s_delay_alu instid0(VALU_DEP_1) | instskip(NEXT) | instid1(VALU_DEP_1)
	v_add_f64_e32 v[8:9], v[28:29], v[8:9]
	v_add_f64_e32 v[8:9], v[10:11], v[8:9]
	v_fma_f64 v[10:11], v[165:166], s[16:17], -v[136:137]
	s_delay_alu instid0(VALU_DEP_1) | instskip(NEXT) | instid1(VALU_DEP_1)
	v_add_f64_e32 v[10:11], v[30:31], v[10:11]
	v_add_f64_e32 v[10:11], v[12:13], v[10:11]
	v_mul_f64_e32 v[12:13], s[54:55], v[162:163]
	scratch_store_b64 off, v[12:13], off offset:332 ; 8-byte Folded Spill
	v_fma_f64 v[12:13], v[104:105], s[28:29], v[12:13]
	s_delay_alu instid0(VALU_DEP_1) | instskip(SKIP_3) | instid1(VALU_DEP_1)
	v_add_f64_e32 v[8:9], v[12:13], v[8:9]
	v_mul_f64_e32 v[12:13], s[54:55], v[169:170]
	scratch_store_b64 off, v[12:13], off offset:396 ; 8-byte Folded Spill
	v_fma_f64 v[12:13], v[112:113], s[28:29], -v[12:13]
	v_add_f64_e32 v[10:11], v[12:13], v[10:11]
	v_mul_f64_e32 v[12:13], s[46:47], v[173:174]
	scratch_store_b64 off, v[12:13], off offset:356 ; 8-byte Folded Spill
	v_fma_f64 v[12:13], v[108:109], s[22:23], v[12:13]
	s_delay_alu instid0(VALU_DEP_1) | instskip(SKIP_3) | instid1(VALU_DEP_1)
	v_add_f64_e32 v[8:9], v[12:13], v[8:9]
	v_mul_f64_e32 v[12:13], s[46:47], v[175:176]
	scratch_store_b64 off, v[12:13], off offset:460 ; 8-byte Folded Spill
	v_fma_f64 v[12:13], v[120:121], s[22:23], -v[12:13]
	v_add_f64_e32 v[10:11], v[12:13], v[10:11]
	v_mul_f64_e32 v[12:13], s[52:53], v[177:178]
	scratch_store_b64 off, v[12:13], off offset:452 ; 8-byte Folded Spill
	v_fma_f64 v[12:13], v[116:117], s[10:11], v[12:13]
	s_delay_alu instid0(VALU_DEP_1) | instskip(SKIP_3) | instid1(VALU_DEP_1)
	v_add_f64_e32 v[8:9], v[12:13], v[8:9]
	v_mul_f64_e32 v[12:13], s[52:53], v[179:180]
	scratch_store_b64 off, v[12:13], off offset:580 ; 8-byte Folded Spill
	v_fma_f64 v[12:13], v[134:135], s[10:11], -v[12:13]
	v_add_f64_e32 v[10:11], v[12:13], v[10:11]
	v_mul_f64_e32 v[12:13], s[14:15], v[181:182]
	scratch_store_b64 off, v[12:13], off offset:548 ; 8-byte Folded Spill
	v_fma_f64 v[12:13], v[130:131], s[6:7], v[12:13]
	s_delay_alu instid0(VALU_DEP_1) | instskip(SKIP_1) | instid1(VALU_DEP_1)
	v_add_f64_e32 v[8:9], v[12:13], v[8:9]
	v_fma_f64 v[12:13], v[144:145], s[6:7], -v[217:218]
	v_add_f64_e32 v[10:11], v[12:13], v[10:11]
	v_mul_f64_e32 v[12:13], s[34:35], v[185:186]
	scratch_store_b64 off, v[12:13], off offset:444 ; 8-byte Folded Spill
	v_fma_f64 v[12:13], v[138:139], s[18:19], v[12:13]
	s_delay_alu instid0(VALU_DEP_1) | instskip(SKIP_3) | instid1(VALU_DEP_1)
	v_add_f64_e32 v[8:9], v[12:13], v[8:9]
	v_mul_f64_e32 v[12:13], s[34:35], v[191:192]
	scratch_store_b64 off, v[12:13], off offset:500 ; 8-byte Folded Spill
	v_fma_f64 v[12:13], v[152:153], s[18:19], -v[12:13]
	v_add_f64_e32 v[10:11], v[12:13], v[10:11]
	v_mul_f64_e32 v[12:13], s[40:41], v[203:204]
	scratch_store_b64 off, v[12:13], off offset:428 ; 8-byte Folded Spill
	v_fma_f64 v[12:13], v[148:149], s[26:27], v[12:13]
	s_delay_alu instid0(VALU_DEP_1) | instskip(SKIP_3) | instid1(VALU_DEP_1)
	v_add_f64_e32 v[8:9], v[12:13], v[8:9]
	v_mul_f64_e32 v[12:13], s[40:41], v[209:210]
	scratch_store_b64 off, v[12:13], off offset:492 ; 8-byte Folded Spill
	v_fma_f64 v[12:13], v[158:159], s[26:27], -v[12:13]
	v_add_f64_e32 v[10:11], v[12:13], v[10:11]
	v_fma_f64 v[12:13], v[124:125], s[18:19], v[140:141]
	s_delay_alu instid0(VALU_DEP_1) | instskip(NEXT) | instid1(VALU_DEP_1)
	v_add_f64_e32 v[12:13], v[28:29], v[12:13]
	v_add_f64_e32 v[12:13], v[14:15], v[12:13]
	v_fma_f64 v[14:15], v[165:166], s[18:19], -v[146:147]
	s_delay_alu instid0(VALU_DEP_1) | instskip(NEXT) | instid1(VALU_DEP_1)
	v_add_f64_e32 v[14:15], v[30:31], v[14:15]
	v_add_f64_e32 v[14:15], v[16:17], v[14:15]
	v_mul_f64_e32 v[16:17], s[46:47], v[162:163]
	scratch_store_b64 off, v[16:17], off offset:404 ; 8-byte Folded Spill
	v_fma_f64 v[16:17], v[104:105], s[22:23], v[16:17]
	s_delay_alu instid0(VALU_DEP_1) | instskip(SKIP_3) | instid1(VALU_DEP_1)
	v_add_f64_e32 v[12:13], v[16:17], v[12:13]
	v_mul_f64_e32 v[16:17], s[46:47], v[169:170]
	scratch_store_b64 off, v[16:17], off offset:516 ; 8-byte Folded Spill
	v_fma_f64 v[16:17], v[112:113], s[22:23], -v[16:17]
	v_add_f64_e32 v[14:15], v[16:17], v[14:15]
	v_mul_f64_e32 v[16:17], s[48:49], v[173:174]
	scratch_store_b64 off, v[16:17], off offset:420 ; 8-byte Folded Spill
	v_fma_f64 v[16:17], v[108:109], s[6:7], v[16:17]
	s_delay_alu instid0(VALU_DEP_1) | instskip(SKIP_3) | instid1(VALU_DEP_1)
	v_add_f64_e32 v[12:13], v[16:17], v[12:13]
	v_mul_f64_e32 v[16:17], s[48:49], v[175:176]
	scratch_store_b64 off, v[16:17], off offset:596 ; 8-byte Folded Spill
	v_fma_f64 v[16:17], v[120:121], s[6:7], -v[16:17]
	v_add_f64_e32 v[14:15], v[16:17], v[14:15]
	v_mul_f64_e32 v[16:17], s[30:31], v[177:178]
	scratch_store_b64 off, v[16:17], off offset:540 ; 8-byte Folded Spill
	v_fma_f64 v[16:17], v[116:117], s[16:17], v[16:17]
	s_delay_alu instid0(VALU_DEP_1) | instskip(SKIP_1) | instid1(VALU_DEP_1)
	v_add_f64_e32 v[12:13], v[16:17], v[12:13]
	v_fma_f64 v[16:17], v[134:135], s[16:17], -v[207:208]
	v_add_f64_e32 v[14:15], v[16:17], v[14:15]
	v_fma_f64 v[16:17], v[130:131], s[26:27], v[195:196]
	s_delay_alu instid0(VALU_DEP_1) | instskip(SKIP_1) | instid1(VALU_DEP_1)
	v_add_f64_e32 v[12:13], v[16:17], v[12:13]
	v_fma_f64 v[16:17], v[144:145], s[26:27], -v[233:234]
	v_add_f64_e32 v[14:15], v[16:17], v[14:15]
	v_mul_f64_e32 v[16:17], s[56:57], v[185:186]
	scratch_store_b64 off, v[16:17], off offset:532 ; 8-byte Folded Spill
	v_fma_f64 v[16:17], v[138:139], s[24:25], v[16:17]
	s_delay_alu instid0(VALU_DEP_1) | instskip(SKIP_3) | instid1(VALU_DEP_1)
	v_add_f64_e32 v[12:13], v[16:17], v[12:13]
	v_mul_f64_e32 v[16:17], s[56:57], v[191:192]
	scratch_store_b64 off, v[16:17], off offset:604 ; 8-byte Folded Spill
	v_fma_f64 v[16:17], v[152:153], s[24:25], -v[16:17]
	v_add_f64_e32 v[14:15], v[16:17], v[14:15]
	v_mul_f64_e32 v[16:17], s[52:53], v[203:204]
	scratch_store_b64 off, v[16:17], off offset:508 ; 8-byte Folded Spill
	v_fma_f64 v[16:17], v[148:149], s[10:11], v[16:17]
	s_delay_alu instid0(VALU_DEP_1) | instskip(SKIP_3) | instid1(VALU_DEP_1)
	v_add_f64_e32 v[12:13], v[16:17], v[12:13]
	v_mul_f64_e32 v[16:17], s[52:53], v[209:210]
	scratch_store_b64 off, v[16:17], off offset:588 ; 8-byte Folded Spill
	v_fma_f64 v[16:17], v[158:159], s[10:11], -v[16:17]
	v_add_f64_e32 v[14:15], v[16:17], v[14:15]
	v_fma_f64 v[16:17], v[124:125], s[22:23], v[150:151]
	s_delay_alu instid0(VALU_DEP_1) | instskip(NEXT) | instid1(VALU_DEP_1)
	v_add_f64_e32 v[16:17], v[28:29], v[16:17]
	v_add_f64_e32 v[16:17], v[18:19], v[16:17]
	v_fma_f64 v[18:19], v[165:166], s[22:23], -v[154:155]
	s_delay_alu instid0(VALU_DEP_1) | instskip(NEXT) | instid1(VALU_DEP_1)
	v_add_f64_e32 v[18:19], v[30:31], v[18:19]
	v_add_f64_e32 v[18:19], v[20:21], v[18:19]
	v_mul_f64_e32 v[20:21], s[52:53], v[162:163]
	scratch_store_b64 off, v[20:21], off offset:468 ; 8-byte Folded Spill
	v_fma_f64 v[20:21], v[104:105], s[10:11], v[20:21]
	s_delay_alu instid0(VALU_DEP_1) | instskip(SKIP_3) | instid1(VALU_DEP_1)
	v_add_f64_e32 v[16:17], v[20:21], v[16:17]
	v_mul_f64_e32 v[20:21], s[52:53], v[169:170]
	scratch_store_b64 off, v[20:21], off offset:620 ; 8-byte Folded Spill
	v_fma_f64 v[20:21], v[112:113], s[10:11], -v[20:21]
	v_add_f64_e32 v[18:19], v[20:21], v[18:19]
	v_mul_f64_e32 v[20:21], s[30:31], v[173:174]
	scratch_store_b64 off, v[20:21], off offset:484 ; 8-byte Folded Spill
	v_fma_f64 v[20:21], v[108:109], s[16:17], v[20:21]
	s_delay_alu instid0(VALU_DEP_1) | instskip(SKIP_1) | instid1(VALU_DEP_1)
	v_add_f64_e32 v[16:17], v[20:21], v[16:17]
	v_fma_f64 v[20:21], v[120:121], s[16:17], -v[215:216]
	v_add_f64_e32 v[18:19], v[20:21], v[18:19]
	v_fma_f64 v[20:21], v[116:117], s[28:29], v[199:200]
	s_delay_alu instid0(VALU_DEP_1) | instskip(SKIP_1) | instid1(VALU_DEP_1)
	v_add_f64_e32 v[16:17], v[20:21], v[16:17]
	v_fma_f64 v[20:21], v[134:135], s[28:29], -v[241:242]
	v_add_f64_e32 v[18:19], v[20:21], v[18:19]
	;; [unrolled: 5-line block ×3, first 2 shown]
	v_mul_f64_e32 v[20:21], s[14:15], v[185:186]
	scratch_store_b64 off, v[20:21], off offset:636 ; 8-byte Folded Spill
	v_fma_f64 v[20:21], v[138:139], s[6:7], v[20:21]
	s_delay_alu instid0(VALU_DEP_1) | instskip(SKIP_1) | instid1(VALU_DEP_1)
	v_add_f64_e32 v[16:17], v[20:21], v[16:17]
	v_fma_f64 v[20:21], v[152:153], s[6:7], -v[219:220]
	v_add_f64_e32 v[18:19], v[20:21], v[18:19]
	v_mul_f64_e32 v[20:21], s[38:39], v[203:204]
	scratch_store_b64 off, v[20:21], off offset:612 ; 8-byte Folded Spill
	v_fma_f64 v[20:21], v[148:149], s[24:25], v[20:21]
	s_delay_alu instid0(VALU_DEP_1) | instskip(SKIP_1) | instid1(VALU_DEP_1)
	v_add_f64_e32 v[16:17], v[20:21], v[16:17]
	v_fma_f64 v[20:21], v[158:159], s[24:25], -v[211:212]
	v_add_f64_e32 v[18:19], v[20:21], v[18:19]
	v_fma_f64 v[20:21], v[124:125], s[24:25], v[160:161]
	s_delay_alu instid0(VALU_DEP_1) | instskip(NEXT) | instid1(VALU_DEP_1)
	v_add_f64_e32 v[20:21], v[28:29], v[20:21]
	v_add_f64_e32 v[20:21], v[22:23], v[20:21]
	v_fma_f64 v[22:23], v[165:166], s[24:25], -v[167:168]
	s_delay_alu instid0(VALU_DEP_1) | instskip(NEXT) | instid1(VALU_DEP_1)
	v_add_f64_e32 v[22:23], v[30:31], v[22:23]
	v_add_f64_e32 v[22:23], v[24:25], v[22:23]
	v_mul_f64_e32 v[24:25], s[14:15], v[162:163]
	scratch_store_b64 off, v[24:25], off offset:564 ; 8-byte Folded Spill
	v_fma_f64 v[24:25], v[104:105], s[6:7], v[24:25]
	s_delay_alu instid0(VALU_DEP_1) | instskip(SKIP_1) | instid1(VALU_DEP_1)
	v_add_f64_e32 v[20:21], v[24:25], v[20:21]
	v_fma_f64 v[24:25], v[112:113], s[6:7], -v[223:224]
	v_add_f64_e32 v[22:23], v[24:25], v[22:23]
	v_mul_f64_e32 v[24:25], s[40:41], v[173:174]
	scratch_store_b64 off, v[24:25], off offset:572 ; 8-byte Folded Spill
	v_fma_f64 v[24:25], v[108:109], s[26:27], v[24:25]
	global_wb scope:SCOPE_SE
	s_wait_storecnt 0x0
	s_wait_kmcnt 0x0
	s_barrier_signal -1
	s_barrier_wait -1
	global_inv scope:SCOPE_SE
	v_add_f64_e32 v[20:21], v[24:25], v[20:21]
	v_fma_f64 v[24:25], v[120:121], s[26:27], -v[243:244]
	s_delay_alu instid0(VALU_DEP_1) | instskip(SKIP_1) | instid1(VALU_DEP_1)
	v_add_f64_e32 v[22:23], v[24:25], v[22:23]
	v_fma_f64 v[24:25], v[116:117], s[18:19], v[225:226]
	v_add_f64_e32 v[20:21], v[24:25], v[20:21]
	v_fma_f64 v[24:25], v[134:135], s[18:19], -v[253:254]
	s_delay_alu instid0(VALU_DEP_1) | instskip(SKIP_1) | instid1(VALU_DEP_1)
	v_add_f64_e32 v[22:23], v[24:25], v[22:23]
	v_fma_f64 v[24:25], v[130:131], s[10:11], v[247:248]
	;; [unrolled: 5-line block ×5, first 2 shown]
	v_add_f64_e32 v[24:25], v[28:29], v[24:25]
	s_delay_alu instid0(VALU_DEP_1) | instskip(SKIP_1) | instid1(VALU_DEP_1)
	v_add_f64_e32 v[24:25], v[26:27], v[24:25]
	v_fma_f64 v[26:27], v[165:166], s[26:27], -v[189:190]
	v_add_f64_e32 v[26:27], v[30:31], v[26:27]
	s_delay_alu instid0(VALU_DEP_1) | instskip(SKIP_1) | instid1(VALU_DEP_1)
	v_add_f64_e32 v[26:27], v[98:99], v[26:27]
	v_fma_f64 v[98:99], v[104:105], s[18:19], v[197:198]
	v_add_f64_e32 v[24:25], v[98:99], v[24:25]
	v_fma_f64 v[98:99], v[112:113], s[18:19], -v[239:240]
	s_delay_alu instid0(VALU_DEP_1) | instskip(SKIP_1) | instid1(VALU_DEP_1)
	v_add_f64_e32 v[26:27], v[98:99], v[26:27]
	v_fma_f64 v[98:99], v[108:109], s[24:25], v[201:202]
	v_add_f64_e32 v[24:25], v[98:99], v[24:25]
	v_fma_f64 v[98:99], v[120:121], s[24:25], -v[251:252]
	;; [unrolled: 5-line block ×4, first 2 shown]
	s_delay_alu instid0(VALU_DEP_1) | instskip(SKIP_1) | instid1(VALU_DEP_1)
	v_add_f64_e32 v[26:27], v[98:99], v[26:27]
	v_fma_f64 v[98:99], v[138:139], s[10:11], v[237:238]
	v_add_f64_e32 v[24:25], v[98:99], v[24:25]
	v_mul_f64_e32 v[98:99], s[52:53], v[191:192]
	s_delay_alu instid0(VALU_DEP_1) | instskip(NEXT) | instid1(VALU_DEP_1)
	v_fma_f64 v[229:230], v[152:153], s[10:11], -v[98:99]
	v_add_f64_e32 v[26:27], v[229:230], v[26:27]
	v_mul_f64_e32 v[229:230], s[36:37], v[203:204]
	s_delay_alu instid0(VALU_DEP_1) | instskip(NEXT) | instid1(VALU_DEP_1)
	v_fma_f64 v[249:250], v[148:149], s[22:23], v[229:230]
	v_add_f64_e32 v[24:25], v[249:250], v[24:25]
	v_mul_f64_e32 v[249:250], s[36:37], v[209:210]
	s_delay_alu instid0(VALU_DEP_1) | instskip(NEXT) | instid1(VALU_DEP_1)
	v_fma_f64 v[193:194], v[158:159], s[22:23], -v[249:250]
	v_add_f64_e32 v[26:27], v[193:194], v[26:27]
	v_mul_lo_u16 v193, v164, 17
	scratch_store_b32 off, v193, off offset:120 ; 4-byte Folded Spill
	s_and_saveexec_b32 s0, vcc_lo
	s_cbranch_execz .LBB0_7
; %bb.6:
	v_add_f64_e32 v[48:49], v[28:29], v[48:49]
	v_add_f64_e32 v[50:51], v[30:31], v[50:51]
	s_delay_alu instid0(VALU_DEP_2) | instskip(NEXT) | instid1(VALU_DEP_2)
	v_add_f64_e32 v[48:49], v[48:49], v[52:53]
	v_add_f64_e32 v[50:51], v[50:51], v[54:55]
	v_mul_f64_e32 v[52:53], s[18:19], v[165:166]
	v_mul_f64_e32 v[54:55], s[18:19], v[124:125]
	s_delay_alu instid0(VALU_DEP_4) | instskip(NEXT) | instid1(VALU_DEP_4)
	v_add_f64_e32 v[48:49], v[48:49], v[56:57]
	v_add_f64_e32 v[50:51], v[50:51], v[58:59]
	s_delay_alu instid0(VALU_DEP_4)
	v_add_f64_e32 v[52:53], v[146:147], v[52:53]
	v_mul_f64_e32 v[58:59], s[16:17], v[124:125]
	v_add_f64_e64 v[54:55], v[54:55], -v[140:141]
	v_mul_f64_e32 v[56:57], s[16:17], v[165:166]
	v_add_f64_e32 v[48:49], v[48:49], v[60:61]
	v_add_f64_e32 v[50:51], v[50:51], v[62:63]
	v_mul_f64_e32 v[62:63], s[10:11], v[124:125]
	v_add_f64_e64 v[58:59], v[58:59], -v[132:133]
	v_mul_f64_e32 v[60:61], s[10:11], v[165:166]
	v_add_f64_e32 v[56:57], v[136:137], v[56:57]
	v_add_f64_e32 v[48:49], v[48:49], v[64:65]
	v_add_f64_e32 v[50:51], v[50:51], v[66:67]
	scratch_load_b64 v[66:67], off, off offset:220 th:TH_LOAD_LU ; 8-byte Folded Reload
	v_mul_f64_e32 v[64:65], s[6:7], v[165:166]
	v_add_f64_e64 v[62:63], v[62:63], -v[114:115]
	v_add_f64_e32 v[60:61], v[126:127], v[60:61]
	v_mul_f64_e32 v[114:115], s[18:19], v[158:159]
	v_add_f64_e32 v[48:49], v[48:49], v[68:69]
	v_add_f64_e32 v[50:51], v[50:51], v[70:71]
	v_mul_f64_e32 v[70:71], s[6:7], v[124:125]
	s_delay_alu instid0(VALU_DEP_3) | instskip(SKIP_3) | instid1(VALU_DEP_2)
	v_add_f64_e32 v[48:49], v[48:49], v[72:73]
	scratch_load_b64 v[72:73], off, off offset:124 th:TH_LOAD_LU ; 8-byte Folded Reload
	v_add_f64_e32 v[50:51], v[50:51], v[74:75]
	v_add_f64_e32 v[48:49], v[48:49], v[80:81]
	;; [unrolled: 1-line block ×3, first 2 shown]
	s_delay_alu instid0(VALU_DEP_2) | instskip(NEXT) | instid1(VALU_DEP_2)
	v_add_f64_e32 v[48:49], v[48:49], v[84:85]
	v_add_f64_e32 v[50:51], v[50:51], v[86:87]
	s_delay_alu instid0(VALU_DEP_2) | instskip(NEXT) | instid1(VALU_DEP_2)
	v_add_f64_e32 v[48:49], v[48:49], v[88:89]
	v_add_f64_e32 v[50:51], v[50:51], v[90:91]
	;; [unrolled: 3-line block ×3, first 2 shown]
	v_mul_f64_e32 v[94:95], s[58:59], v[203:204]
	s_delay_alu instid0(VALU_DEP_3) | instskip(NEXT) | instid1(VALU_DEP_3)
	v_add_f64_e32 v[48:49], v[48:49], v[76:77]
	v_add_f64_e32 v[50:51], v[50:51], v[78:79]
	s_delay_alu instid0(VALU_DEP_2) | instskip(SKIP_1) | instid1(VALU_DEP_3)
	v_add_f64_e32 v[44:45], v[48:49], v[44:45]
	v_mul_f64_e32 v[48:49], s[22:23], v[165:166]
	v_add_f64_e32 v[46:47], v[50:51], v[46:47]
	v_mul_f64_e32 v[50:51], s[22:23], v[124:125]
	s_wait_loadcnt 0x1
	v_add_f64_e32 v[64:65], v[66:67], v[64:65]
	v_mul_f64_e32 v[66:67], s[44:45], v[128:129]
	v_add_f64_e32 v[40:41], v[44:45], v[40:41]
	v_add_f64_e32 v[48:49], v[154:155], v[48:49]
	;; [unrolled: 1-line block ×3, first 2 shown]
	v_mul_f64_e32 v[46:47], s[24:25], v[124:125]
	v_mul_f64_e32 v[44:45], s[24:25], v[165:166]
	v_add_f64_e64 v[50:51], v[50:51], -v[150:151]
	v_add_f64_e32 v[64:65], v[30:31], v[64:65]
	v_fma_f64 v[68:69], v[124:125], s[28:29], v[66:67]
	v_fma_f64 v[66:67], v[124:125], s[28:29], -v[66:67]
	v_add_f64_e32 v[36:37], v[40:41], v[36:37]
	v_add_f64_e32 v[80:81], v[30:31], v[48:49]
	;; [unrolled: 1-line block ×3, first 2 shown]
	v_mul_f64_e32 v[42:43], s[26:27], v[124:125]
	v_add_f64_e64 v[46:47], v[46:47], -v[160:161]
	v_add_f64_e32 v[48:49], v[30:31], v[52:53]
	v_mul_f64_e32 v[52:53], s[6:7], v[100:101]
	v_mul_f64_e32 v[40:41], s[26:27], v[165:166]
	v_add_f64_e32 v[44:45], v[167:168], v[44:45]
	v_add_f64_e32 v[82:83], v[28:29], v[50:51]
	;; [unrolled: 1-line block ×3, first 2 shown]
	v_mul_f64_e32 v[54:55], s[26:27], v[112:113]
	s_wait_loadcnt 0x0
	v_add_f64_e64 v[70:71], v[70:71], -v[72:73]
	v_add_f64_e32 v[68:69], v[28:29], v[68:69]
	v_add_f64_e32 v[66:67], v[28:29], v[66:67]
	;; [unrolled: 1-line block ×3, first 2 shown]
	v_mul_f64_e32 v[36:37], s[28:29], v[165:166]
	v_add_f64_e32 v[34:35], v[38:39], v[34:35]
	v_add_f64_e64 v[42:43], v[42:43], -v[187:188]
	v_add_f64_e32 v[78:79], v[28:29], v[46:47]
	v_add_f64_e32 v[46:47], v[28:29], v[58:59]
	;; [unrolled: 1-line block ×5, first 2 shown]
	v_fma_f64 v[56:57], v[169:170], s[50:51], v[54:55]
	v_fma_f64 v[54:55], v[169:170], s[40:41], v[54:55]
	v_add_f64_e32 v[70:71], v[28:29], v[70:71]
	v_fma_f64 v[38:39], v[171:172], s[54:55], v[36:37]
	v_fma_f64 v[36:37], v[171:172], s[44:45], v[36:37]
	v_add_f64_e32 v[74:75], v[28:29], v[42:43]
	v_add_f64_e32 v[42:43], v[28:29], v[62:63]
	v_fma_f64 v[28:29], v[156:157], s[14:15], v[52:53]
	v_fma_f64 v[52:53], v[156:157], s[48:49], v[52:53]
	v_add_f64_e32 v[72:73], v[30:31], v[40:41]
	v_add_f64_e32 v[40:41], v[30:31], v[60:61]
	;; [unrolled: 1-line block ×4, first 2 shown]
	s_delay_alu instid0(VALU_DEP_2) | instskip(SKIP_1) | instid1(VALU_DEP_3)
	v_add_f64_e32 v[28:29], v[28:29], v[38:39]
	v_mul_f64_e32 v[38:39], s[48:49], v[142:143]
	v_add_f64_e32 v[36:37], v[52:53], v[36:37]
	s_delay_alu instid0(VALU_DEP_3) | instskip(NEXT) | instid1(VALU_DEP_3)
	v_add_f64_e32 v[28:29], v[56:57], v[28:29]
	v_fma_f64 v[30:31], v[96:97], s[6:7], v[38:39]
	v_mul_f64_e32 v[56:57], s[40:41], v[162:163]
	v_fma_f64 v[38:39], v[96:97], s[6:7], -v[38:39]
	v_add_f64_e32 v[36:37], v[54:55], v[36:37]
	v_fma_f64 v[54:55], v[148:149], s[18:19], -v[94:95]
	v_add_f64_e32 v[30:31], v[30:31], v[68:69]
	v_fma_f64 v[58:59], v[104:105], s[26:27], v[56:57]
	v_add_f64_e32 v[38:39], v[38:39], v[66:67]
	v_fma_f64 v[52:53], v[104:105], s[26:27], -v[56:57]
	s_clause 0x1
	scratch_load_b64 v[56:57], off, off offset:340 th:TH_LOAD_LU
	scratch_load_b64 v[66:67], off, off offset:324 th:TH_LOAD_LU
	v_add_f64_e32 v[30:31], v[58:59], v[30:31]
	v_mul_f64_e32 v[58:59], s[10:11], v[120:121]
	v_add_f64_e32 v[38:39], v[52:53], v[38:39]
	s_delay_alu instid0(VALU_DEP_2) | instskip(SKIP_1) | instid1(VALU_DEP_2)
	v_fma_f64 v[60:61], v[175:176], s[20:21], v[58:59]
	v_fma_f64 v[58:59], v[175:176], s[52:53], v[58:59]
	v_add_f64_e32 v[28:29], v[60:61], v[28:29]
	v_mul_f64_e32 v[60:61], s[52:53], v[173:174]
	s_delay_alu instid0(VALU_DEP_3)
	v_add_f64_e32 v[36:37], v[58:59], v[36:37]
	scratch_load_b64 v[58:59], off, off offset:300 th:TH_LOAD_LU ; 8-byte Folded Reload
	v_fma_f64 v[62:63], v[108:109], s[10:11], v[60:61]
	v_fma_f64 v[52:53], v[108:109], s[10:11], -v[60:61]
	scratch_load_b64 v[60:61], off, off offset:276 th:TH_LOAD_LU ; 8-byte Folded Reload
	v_add_f64_e32 v[30:31], v[62:63], v[30:31]
	v_mul_f64_e32 v[62:63], s[24:25], v[134:135]
	v_add_f64_e32 v[38:39], v[52:53], v[38:39]
	s_delay_alu instid0(VALU_DEP_2) | instskip(SKIP_1) | instid1(VALU_DEP_2)
	v_fma_f64 v[68:69], v[179:180], s[56:57], v[62:63]
	v_fma_f64 v[62:63], v[179:180], s[38:39], v[62:63]
	v_add_f64_e32 v[28:29], v[68:69], v[28:29]
	v_mul_f64_e32 v[68:69], s[38:39], v[177:178]
	s_delay_alu instid0(VALU_DEP_3)
	v_add_f64_e32 v[36:37], v[62:63], v[36:37]
	scratch_load_b64 v[62:63], off, off offset:260 th:TH_LOAD_LU ; 8-byte Folded Reload
	v_fma_f64 v[84:85], v[116:117], s[24:25], v[68:69]
	v_fma_f64 v[52:53], v[116:117], s[24:25], -v[68:69]
	scratch_load_b64 v[68:69], off, off offset:284 th:TH_LOAD_LU ; 8-byte Folded Reload
	v_add_f64_e32 v[30:31], v[84:85], v[30:31]
	v_mul_f64_e32 v[84:85], s[16:17], v[144:145]
	v_add_f64_e32 v[38:39], v[52:53], v[38:39]
	s_delay_alu instid0(VALU_DEP_2) | instskip(SKIP_1) | instid1(VALU_DEP_2)
	v_fma_f64 v[86:87], v[183:184], s[30:31], v[84:85]
	v_fma_f64 v[84:85], v[183:184], s[42:43], v[84:85]
	v_add_f64_e32 v[28:29], v[86:87], v[28:29]
	v_mul_f64_e32 v[86:87], s[42:43], v[181:182]
	s_delay_alu instid0(VALU_DEP_3)
	v_add_f64_e32 v[36:37], v[84:85], v[36:37]
	scratch_load_b64 v[84:85], off, off offset:236 th:TH_LOAD_LU ; 8-byte Folded Reload
	v_fma_f64 v[88:89], v[130:131], s[16:17], v[86:87]
	v_fma_f64 v[52:53], v[130:131], s[16:17], -v[86:87]
	scratch_load_b64 v[86:87], off, off offset:244 th:TH_LOAD_LU ; 8-byte Folded Reload
	v_add_f64_e32 v[30:31], v[88:89], v[30:31]
	v_mul_f64_e32 v[88:89], s[22:23], v[152:153]
	v_add_f64_e32 v[38:39], v[52:53], v[38:39]
	s_delay_alu instid0(VALU_DEP_2) | instskip(SKIP_1) | instid1(VALU_DEP_2)
	v_fma_f64 v[90:91], v[191:192], s[46:47], v[88:89]
	v_fma_f64 v[88:89], v[191:192], s[36:37], v[88:89]
	v_add_f64_e32 v[28:29], v[90:91], v[28:29]
	v_mul_f64_e32 v[90:91], s[36:37], v[185:186]
	s_delay_alu instid0(VALU_DEP_3) | instskip(NEXT) | instid1(VALU_DEP_2)
	v_add_f64_e32 v[36:37], v[88:89], v[36:37]
	v_fma_f64 v[92:93], v[138:139], s[22:23], v[90:91]
	v_fma_f64 v[52:53], v[138:139], s[22:23], -v[90:91]
	s_delay_alu instid0(VALU_DEP_2) | instskip(SKIP_1) | instid1(VALU_DEP_3)
	v_add_f64_e32 v[92:93], v[92:93], v[30:31]
	v_fma_f64 v[30:31], v[209:210], s[34:35], v[114:115]
	v_add_f64_e32 v[52:53], v[52:53], v[38:39]
	s_delay_alu instid0(VALU_DEP_2) | instskip(SKIP_1) | instid1(VALU_DEP_1)
	v_add_f64_e32 v[30:31], v[30:31], v[28:29]
	v_fma_f64 v[28:29], v[148:149], s[18:19], v[94:95]
	v_add_f64_e32 v[28:29], v[28:29], v[92:93]
	v_fma_f64 v[92:93], v[209:210], s[58:59], v[114:115]
	s_delay_alu instid0(VALU_DEP_1) | instskip(SKIP_4) | instid1(VALU_DEP_1)
	v_add_f64_e32 v[38:39], v[92:93], v[36:37]
	v_add_f64_e32 v[36:37], v[54:55], v[52:53]
	scratch_load_b64 v[54:55], off, off offset:388 th:TH_LOAD_LU ; 8-byte Folded Reload
	v_mul_f64_e32 v[52:53], s[22:23], v[144:145]
	s_wait_loadcnt 0x0
	v_add_f64_e32 v[52:53], v[54:55], v[52:53]
	v_mul_f64_e32 v[54:55], s[26:27], v[134:135]
	s_delay_alu instid0(VALU_DEP_1) | instskip(SKIP_1) | instid1(VALU_DEP_1)
	v_add_f64_e32 v[54:55], v[56:57], v[54:55]
	v_mul_f64_e32 v[56:57], s[28:29], v[120:121]
	v_add_f64_e32 v[56:57], v[58:59], v[56:57]
	v_mul_f64_e32 v[58:59], s[24:25], v[112:113]
	s_delay_alu instid0(VALU_DEP_1) | instskip(SKIP_1) | instid1(VALU_DEP_1)
	v_add_f64_e32 v[58:59], v[60:61], v[58:59]
	v_mul_f64_e32 v[60:61], s[18:19], v[100:101]
	v_add_f64_e32 v[60:61], v[62:63], v[60:61]
	v_mul_f64_e32 v[62:63], s[22:23], v[130:131]
	s_delay_alu instid0(VALU_DEP_2) | instskip(NEXT) | instid1(VALU_DEP_2)
	v_add_f64_e32 v[40:41], v[60:61], v[40:41]
	v_add_f64_e64 v[62:63], v[62:63], -v[66:67]
	v_mul_f64_e32 v[66:67], s[26:27], v[116:117]
	v_mul_f64_e32 v[60:61], s[28:29], v[108:109]
	s_delay_alu instid0(VALU_DEP_4) | instskip(SKIP_1) | instid1(VALU_DEP_4)
	v_add_f64_e32 v[40:41], v[58:59], v[40:41]
	v_mul_f64_e32 v[58:59], s[16:17], v[152:153]
	v_add_f64_e64 v[66:67], v[66:67], -v[68:69]
	v_mul_f64_e32 v[68:69], s[18:19], v[96:97]
	s_delay_alu instid0(VALU_DEP_4) | instskip(SKIP_1) | instid1(VALU_DEP_3)
	v_add_f64_e32 v[40:41], v[56:57], v[40:41]
	v_mul_f64_e32 v[56:57], s[16:17], v[138:139]
	v_add_f64_e64 v[68:69], v[68:69], -v[84:85]
	v_mul_f64_e32 v[84:85], s[24:25], v[104:105]
	s_delay_alu instid0(VALU_DEP_4) | instskip(SKIP_1) | instid1(VALU_DEP_4)
	v_add_f64_e32 v[40:41], v[54:55], v[40:41]
	v_mul_f64_e32 v[54:55], s[6:7], v[158:159]
	v_add_f64_e32 v[42:43], v[68:69], v[42:43]
	scratch_load_b64 v[68:69], off, off offset:252 th:TH_LOAD_LU ; 8-byte Folded Reload
	v_add_f64_e64 v[84:85], v[84:85], -v[86:87]
	v_add_f64_e32 v[40:41], v[52:53], v[40:41]
	v_mul_f64_e32 v[52:53], s[6:7], v[148:149]
	s_delay_alu instid0(VALU_DEP_3)
	v_add_f64_e32 v[42:43], v[84:85], v[42:43]
	scratch_load_b64 v[84:85], off, off offset:308 th:TH_LOAD_LU ; 8-byte Folded Reload
	s_wait_loadcnt 0x1
	v_add_f64_e64 v[60:61], v[60:61], -v[68:69]
	scratch_load_b64 v[68:69], off, off offset:348 th:TH_LOAD_LU ; 8-byte Folded Reload
	v_add_f64_e32 v[42:43], v[60:61], v[42:43]
	scratch_load_b64 v[60:61], off, off offset:292 th:TH_LOAD_LU ; 8-byte Folded Reload
	v_add_f64_e32 v[42:43], v[66:67], v[42:43]
	s_clause 0x1
	scratch_load_b64 v[66:67], off, off offset:548 th:TH_LOAD_LU
	scratch_load_b64 v[86:87], off, off offset:332 th:TH_LOAD_LU
	v_add_f64_e32 v[42:43], v[62:63], v[42:43]
	scratch_load_b64 v[62:63], off, off offset:364 th:TH_LOAD_LU ; 8-byte Folded Reload
	s_wait_loadcnt 0x3
	v_add_f64_e64 v[56:57], v[56:57], -v[60:61]
	scratch_load_b64 v[60:61], off, off offset:380 th:TH_LOAD_LU ; 8-byte Folded Reload
	v_add_f64_e32 v[56:57], v[56:57], v[42:43]
	s_wait_loadcnt 0x0
	v_add_f64_e32 v[54:55], v[60:61], v[54:55]
	scratch_load_b64 v[60:61], off, off offset:316 th:TH_LOAD_LU ; 8-byte Folded Reload
	v_add_f64_e32 v[58:59], v[68:69], v[58:59]
	scratch_load_b64 v[68:69], off, off offset:452 th:TH_LOAD_LU ; 8-byte Folded Reload
	;; [unrolled: 2-line block ×3, first 2 shown]
	v_add_f64_e32 v[42:43], v[54:55], v[40:41]
	v_mul_f64_e32 v[54:55], s[10:11], v[134:135]
	s_wait_loadcnt 0x2
	v_add_f64_e64 v[52:53], v[52:53], -v[60:61]
	scratch_load_b64 v[60:61], off, off offset:396 th:TH_LOAD_LU ; 8-byte Folded Reload
	v_add_f64_e32 v[40:41], v[52:53], v[56:57]
	scratch_load_b64 v[56:57], off, off offset:580 th:TH_LOAD_LU ; 8-byte Folded Reload
	v_mul_f64_e32 v[52:53], s[6:7], v[144:145]
	s_delay_alu instid0(VALU_DEP_1) | instskip(SKIP_3) | instid1(VALU_DEP_1)
	v_add_f64_e32 v[52:53], v[217:218], v[52:53]
	s_wait_loadcnt 0x0
	v_add_f64_e32 v[54:55], v[56:57], v[54:55]
	v_mul_f64_e32 v[56:57], s[22:23], v[120:121]
	v_add_f64_e32 v[56:57], v[58:59], v[56:57]
	v_mul_f64_e32 v[58:59], s[28:29], v[112:113]
	s_delay_alu instid0(VALU_DEP_1) | instskip(SKIP_1) | instid1(VALU_DEP_1)
	v_add_f64_e32 v[58:59], v[60:61], v[58:59]
	v_mul_f64_e32 v[60:61], s[24:25], v[100:101]
	v_add_f64_e32 v[60:61], v[62:63], v[60:61]
	v_mul_f64_e32 v[62:63], s[6:7], v[130:131]
	s_delay_alu instid0(VALU_DEP_2) | instskip(NEXT) | instid1(VALU_DEP_2)
	v_add_f64_e32 v[44:45], v[60:61], v[44:45]
	v_add_f64_e64 v[62:63], v[62:63], -v[66:67]
	v_mul_f64_e32 v[66:67], s[10:11], v[116:117]
	v_mul_f64_e32 v[60:61], s[22:23], v[108:109]
	s_delay_alu instid0(VALU_DEP_4) | instskip(SKIP_1) | instid1(VALU_DEP_4)
	v_add_f64_e32 v[44:45], v[58:59], v[44:45]
	v_mul_f64_e32 v[58:59], s[18:19], v[152:153]
	v_add_f64_e64 v[66:67], v[66:67], -v[68:69]
	v_mul_f64_e32 v[68:69], s[24:25], v[96:97]
	s_delay_alu instid0(VALU_DEP_4) | instskip(SKIP_1) | instid1(VALU_DEP_3)
	v_add_f64_e32 v[44:45], v[56:57], v[44:45]
	v_mul_f64_e32 v[56:57], s[18:19], v[138:139]
	v_add_f64_e64 v[68:69], v[68:69], -v[84:85]
	v_mul_f64_e32 v[84:85], s[28:29], v[104:105]
	s_delay_alu instid0(VALU_DEP_4) | instskip(SKIP_1) | instid1(VALU_DEP_4)
	v_add_f64_e32 v[44:45], v[54:55], v[44:45]
	v_mul_f64_e32 v[54:55], s[26:27], v[158:159]
	v_add_f64_e32 v[46:47], v[68:69], v[46:47]
	scratch_load_b64 v[68:69], off, off offset:356 th:TH_LOAD_LU ; 8-byte Folded Reload
	v_add_f64_e64 v[84:85], v[84:85], -v[86:87]
	scratch_load_b64 v[86:87], off, off offset:404 th:TH_LOAD_LU ; 8-byte Folded Reload
	v_add_f64_e32 v[44:45], v[52:53], v[44:45]
	v_mul_f64_e32 v[52:53], s[26:27], v[148:149]
	v_add_f64_e32 v[46:47], v[84:85], v[46:47]
	scratch_load_b64 v[84:85], off, off offset:372 th:TH_LOAD_LU ; 8-byte Folded Reload
	s_wait_loadcnt 0x2
	v_add_f64_e64 v[60:61], v[60:61], -v[68:69]
	scratch_load_b64 v[68:69], off, off offset:500 th:TH_LOAD_LU ; 8-byte Folded Reload
	v_add_f64_e32 v[46:47], v[60:61], v[46:47]
	scratch_load_b64 v[60:61], off, off offset:444 th:TH_LOAD_LU ; 8-byte Folded Reload
	v_add_f64_e32 v[46:47], v[66:67], v[46:47]
	v_mul_f64_e32 v[66:67], s[16:17], v[116:117]
	s_delay_alu instid0(VALU_DEP_2)
	v_add_f64_e32 v[46:47], v[62:63], v[46:47]
	scratch_load_b64 v[62:63], off, off offset:436 th:TH_LOAD_LU ; 8-byte Folded Reload
	s_wait_loadcnt 0x2
	v_add_f64_e32 v[58:59], v[68:69], v[58:59]
	scratch_load_b64 v[68:69], off, off offset:540 th:TH_LOAD_LU ; 8-byte Folded Reload
	v_add_f64_e32 v[44:45], v[58:59], v[44:45]
	scratch_load_b64 v[58:59], off, off offset:596 th:TH_LOAD_LU ; 8-byte Folded Reload
	s_wait_loadcnt 0x1
	v_add_f64_e64 v[66:67], v[66:67], -v[68:69]
	v_mul_f64_e32 v[68:69], s[28:29], v[96:97]
	s_delay_alu instid0(VALU_DEP_1) | instskip(SKIP_1) | instid1(VALU_DEP_2)
	v_add_f64_e64 v[68:69], v[68:69], -v[84:85]
	v_mul_f64_e32 v[84:85], s[22:23], v[104:105]
	v_add_f64_e32 v[50:51], v[68:69], v[50:51]
	s_delay_alu instid0(VALU_DEP_2)
	v_add_f64_e64 v[84:85], v[84:85], -v[86:87]
	scratch_load_b64 v[86:87], off, off offset:468 th:TH_LOAD_LU ; 8-byte Folded Reload
	v_add_f64_e64 v[56:57], v[56:57], -v[60:61]
	s_clause 0x1
	scratch_load_b64 v[60:61], off, off offset:492 th:TH_LOAD_LU
	scratch_load_b64 v[68:69], off, off offset:420 th:TH_LOAD_LU
	v_add_f64_e32 v[50:51], v[84:85], v[50:51]
	scratch_load_b64 v[84:85], off, off offset:412 th:TH_LOAD_LU ; 8-byte Folded Reload
	v_add_f64_e32 v[56:57], v[56:57], v[46:47]
	s_wait_loadcnt 0x2
	v_add_f64_e32 v[54:55], v[60:61], v[54:55]
	scratch_load_b64 v[60:61], off, off offset:428 th:TH_LOAD_LU ; 8-byte Folded Reload
	v_add_f64_e32 v[46:47], v[54:55], v[44:45]
	v_mul_f64_e32 v[54:55], s[16:17], v[134:135]
	s_delay_alu instid0(VALU_DEP_1)
	v_add_f64_e32 v[54:55], v[207:208], v[54:55]
	s_wait_loadcnt 0x0
	v_add_f64_e64 v[52:53], v[52:53], -v[60:61]
	scratch_load_b64 v[60:61], off, off offset:516 th:TH_LOAD_LU ; 8-byte Folded Reload
	v_add_f64_e32 v[44:45], v[52:53], v[56:57]
	v_mul_f64_e32 v[56:57], s[6:7], v[120:121]
	v_mul_f64_e32 v[52:53], s[26:27], v[144:145]
	s_delay_alu instid0(VALU_DEP_2) | instskip(SKIP_1) | instid1(VALU_DEP_3)
	v_add_f64_e32 v[56:57], v[58:59], v[56:57]
	v_mul_f64_e32 v[58:59], s[22:23], v[112:113]
	v_add_f64_e32 v[52:53], v[233:234], v[52:53]
	s_wait_loadcnt 0x0
	s_delay_alu instid0(VALU_DEP_2) | instskip(SKIP_1) | instid1(VALU_DEP_1)
	v_add_f64_e32 v[58:59], v[60:61], v[58:59]
	v_mul_f64_e32 v[60:61], s[28:29], v[100:101]
	v_add_f64_e32 v[60:61], v[62:63], v[60:61]
	v_mul_f64_e32 v[62:63], s[26:27], v[130:131]
	s_delay_alu instid0(VALU_DEP_2) | instskip(SKIP_1) | instid1(VALU_DEP_3)
	v_add_f64_e32 v[48:49], v[60:61], v[48:49]
	v_mul_f64_e32 v[60:61], s[6:7], v[108:109]
	v_add_f64_e64 v[62:63], v[62:63], -v[195:196]
	s_delay_alu instid0(VALU_DEP_3) | instskip(NEXT) | instid1(VALU_DEP_3)
	v_add_f64_e32 v[48:49], v[58:59], v[48:49]
	v_add_f64_e64 v[60:61], v[60:61], -v[68:69]
	scratch_load_b64 v[68:69], off, off offset:604 th:TH_LOAD_LU ; 8-byte Folded Reload
	v_mul_f64_e32 v[58:59], s[24:25], v[152:153]
	v_add_f64_e32 v[48:49], v[56:57], v[48:49]
	v_add_f64_e32 v[50:51], v[60:61], v[50:51]
	scratch_load_b64 v[60:61], off, off offset:532 th:TH_LOAD_LU ; 8-byte Folded Reload
	v_mul_f64_e32 v[56:57], s[24:25], v[138:139]
	v_add_f64_e32 v[48:49], v[54:55], v[48:49]
	v_mul_f64_e32 v[54:55], s[10:11], v[158:159]
	v_add_f64_e32 v[50:51], v[66:67], v[50:51]
	v_mul_f64_e32 v[66:67], s[28:29], v[116:117]
	s_delay_alu instid0(VALU_DEP_4) | instskip(SKIP_1) | instid1(VALU_DEP_4)
	v_add_f64_e32 v[48:49], v[52:53], v[48:49]
	v_mul_f64_e32 v[52:53], s[10:11], v[148:149]
	v_add_f64_e32 v[50:51], v[62:63], v[50:51]
	s_delay_alu instid0(VALU_DEP_4) | instskip(SKIP_4) | instid1(VALU_DEP_2)
	v_add_f64_e64 v[66:67], v[66:67], -v[199:200]
	scratch_load_b64 v[62:63], off, off offset:524 th:TH_LOAD_LU ; 8-byte Folded Reload
	s_wait_loadcnt 0x2
	v_add_f64_e32 v[58:59], v[68:69], v[58:59]
	v_mul_f64_e32 v[68:69], s[26:27], v[96:97]
	v_add_f64_e32 v[48:49], v[58:59], v[48:49]
	s_delay_alu instid0(VALU_DEP_2) | instskip(SKIP_2) | instid1(VALU_DEP_3)
	v_add_f64_e64 v[68:69], v[68:69], -v[84:85]
	v_mul_f64_e32 v[84:85], s[10:11], v[104:105]
	v_mul_f64_e32 v[58:59], s[10:11], v[112:113]
	v_add_f64_e32 v[68:69], v[68:69], v[82:83]
	s_delay_alu instid0(VALU_DEP_3)
	v_add_f64_e64 v[84:85], v[84:85], -v[86:87]
	scratch_load_b64 v[86:87], off, off offset:564 th:TH_LOAD_LU ; 8-byte Folded Reload
	s_wait_loadcnt 0x2
	v_add_f64_e64 v[56:57], v[56:57], -v[60:61]
	s_clause 0x1
	scratch_load_b64 v[60:61], off, off offset:588 th:TH_LOAD_LU
	scratch_load_b64 v[82:83], off, off offset:484 th:TH_LOAD_LU
	v_add_f64_e32 v[56:57], v[56:57], v[50:51]
	s_wait_loadcnt 0x1
	v_add_f64_e32 v[54:55], v[60:61], v[54:55]
	scratch_load_b64 v[60:61], off, off offset:508 th:TH_LOAD_LU ; 8-byte Folded Reload
	v_add_f64_e32 v[50:51], v[54:55], v[48:49]
	v_mul_f64_e32 v[54:55], s[28:29], v[134:135]
	s_delay_alu instid0(VALU_DEP_1)
	v_add_f64_e32 v[54:55], v[241:242], v[54:55]
	s_wait_loadcnt 0x0
	v_add_f64_e64 v[52:53], v[52:53], -v[60:61]
	scratch_load_b64 v[60:61], off, off offset:620 th:TH_LOAD_LU ; 8-byte Folded Reload
	v_add_f64_e32 v[48:49], v[52:53], v[56:57]
	v_mul_f64_e32 v[56:57], s[16:17], v[120:121]
	v_mul_f64_e32 v[52:53], s[18:19], v[144:145]
	s_delay_alu instid0(VALU_DEP_2) | instskip(NEXT) | instid1(VALU_DEP_2)
	v_add_f64_e32 v[56:57], v[215:216], v[56:57]
	v_add_f64_e32 v[52:53], v[102:103], v[52:53]
	s_wait_loadcnt 0x0
	v_add_f64_e32 v[58:59], v[60:61], v[58:59]
	v_mul_f64_e32 v[60:61], s[26:27], v[100:101]
	s_delay_alu instid0(VALU_DEP_1) | instskip(SKIP_1) | instid1(VALU_DEP_2)
	v_add_f64_e32 v[60:61], v[62:63], v[60:61]
	v_mul_f64_e32 v[62:63], s[18:19], v[130:131]
	v_add_f64_e32 v[60:61], v[60:61], v[80:81]
	v_mul_f64_e32 v[80:81], s[16:17], v[108:109]
	s_delay_alu instid0(VALU_DEP_3) | instskip(NEXT) | instid1(VALU_DEP_3)
	v_add_f64_e64 v[62:63], v[62:63], -v[227:228]
	v_add_f64_e32 v[58:59], v[58:59], v[60:61]
	v_add_f64_e32 v[60:61], v[84:85], v[68:69]
	scratch_load_b64 v[84:85], off, off offset:476 th:TH_LOAD_LU ; 8-byte Folded Reload
	v_add_f64_e64 v[80:81], v[80:81], -v[82:83]
	v_mul_f64_e32 v[68:69], s[6:7], v[152:153]
	v_mul_f64_e32 v[82:83], s[22:23], v[96:97]
	v_add_f64_e32 v[56:57], v[56:57], v[58:59]
	s_delay_alu instid0(VALU_DEP_4) | instskip(NEXT) | instid1(VALU_DEP_4)
	v_add_f64_e32 v[58:59], v[80:81], v[60:61]
	v_add_f64_e32 v[68:69], v[219:220], v[68:69]
	scratch_load_b64 v[80:81], off, off offset:636 th:TH_LOAD_LU ; 8-byte Folded Reload
	v_mul_f64_e32 v[60:61], s[6:7], v[138:139]
	v_add_f64_e32 v[54:55], v[54:55], v[56:57]
	v_add_f64_e32 v[56:57], v[66:67], v[58:59]
	v_mul_f64_e32 v[66:67], s[22:23], v[100:101]
	v_mul_f64_e32 v[58:59], s[24:25], v[158:159]
	s_delay_alu instid0(VALU_DEP_4) | instskip(NEXT) | instid1(VALU_DEP_4)
	v_add_f64_e32 v[52:53], v[52:53], v[54:55]
	v_add_f64_e32 v[54:55], v[62:63], v[56:57]
	scratch_load_b64 v[62:63], off, off offset:612 th:TH_LOAD_LU ; 8-byte Folded Reload
	v_mul_f64_e32 v[56:57], s[24:25], v[148:149]
	v_add_f64_e32 v[58:59], v[211:212], v[58:59]
	v_add_f64_e32 v[52:53], v[68:69], v[52:53]
	scratch_load_b64 v[68:69], off, off offset:628 th:TH_LOAD_LU ; 8-byte Folded Reload
	s_wait_loadcnt 0x3
	v_add_f64_e64 v[82:83], v[82:83], -v[84:85]
	v_mul_f64_e32 v[84:85], s[6:7], v[104:105]
	s_delay_alu instid0(VALU_DEP_1) | instskip(SKIP_4) | instid1(VALU_DEP_2)
	v_add_f64_e64 v[84:85], v[84:85], -v[86:87]
	scratch_load_b64 v[86:87], off, off offset:56 th:TH_LOAD_LU ; 8-byte Folded Reload
	s_wait_loadcnt 0x3
	v_add_f64_e64 v[60:61], v[60:61], -v[80:81]
	v_mul_f64_e32 v[80:81], s[18:19], v[116:117]
	v_add_f64_e32 v[60:61], v[60:61], v[54:55]
	v_add_f64_e32 v[54:55], v[58:59], v[52:53]
	v_mul_f64_e32 v[58:59], s[18:19], v[134:135]
	s_delay_alu instid0(VALU_DEP_4) | instskip(NEXT) | instid1(VALU_DEP_2)
	v_add_f64_e64 v[80:81], v[80:81], -v[225:226]
	v_add_f64_e32 v[58:59], v[253:254], v[58:59]
	s_wait_loadcnt 0x1
	v_add_f64_e32 v[66:67], v[68:69], v[66:67]
	v_mul_f64_e32 v[68:69], s[10:11], v[130:131]
	s_delay_alu instid0(VALU_DEP_2)
	v_add_f64_e32 v[66:67], v[66:67], v[76:77]
	v_add_f64_e32 v[76:77], v[82:83], v[78:79]
	scratch_load_b64 v[82:83], off, off offset:572 th:TH_LOAD_LU ; 8-byte Folded Reload
	v_add_f64_e64 v[56:57], v[56:57], -v[62:63]
	v_mul_f64_e32 v[62:63], s[6:7], v[112:113]
	v_mul_f64_e32 v[78:79], s[26:27], v[108:109]
	v_add_f64_e64 v[68:69], v[68:69], -v[247:248]
	s_delay_alu instid0(VALU_DEP_4) | instskip(NEXT) | instid1(VALU_DEP_4)
	v_add_f64_e32 v[52:53], v[56:57], v[60:61]
	v_add_f64_e32 v[62:63], v[223:224], v[62:63]
	v_mul_f64_e32 v[60:61], s[26:27], v[120:121]
	v_mul_f64_e32 v[56:57], s[10:11], v[144:145]
	s_delay_alu instid0(VALU_DEP_3)
	v_add_f64_e32 v[62:63], v[62:63], v[66:67]
	v_add_f64_e32 v[66:67], v[84:85], v[76:77]
	scratch_load_b64 v[84:85], off, off offset:556 th:TH_LOAD_LU ; 8-byte Folded Reload
	v_add_f64_e32 v[60:61], v[243:244], v[60:61]
	v_add_f64_e32 v[56:57], v[118:119], v[56:57]
	v_mul_f64_e32 v[76:77], s[28:29], v[152:153]
	s_delay_alu instid0(VALU_DEP_3) | instskip(NEXT) | instid1(VALU_DEP_2)
	v_add_f64_e32 v[60:61], v[60:61], v[62:63]
	v_add_f64_e32 v[76:77], v[235:236], v[76:77]
	s_delay_alu instid0(VALU_DEP_2) | instskip(NEXT) | instid1(VALU_DEP_1)
	v_add_f64_e32 v[58:59], v[58:59], v[60:61]
	v_add_f64_e32 v[56:57], v[56:57], v[58:59]
	s_delay_alu instid0(VALU_DEP_1) | instskip(SKIP_1) | instid1(VALU_DEP_1)
	v_add_f64_e32 v[56:57], v[76:77], v[56:57]
	v_mul_f64_e32 v[76:77], s[16:17], v[100:101]
	v_add_f64_e32 v[76:77], v[213:214], v[76:77]
	s_delay_alu instid0(VALU_DEP_1) | instskip(SKIP_4) | instid1(VALU_DEP_3)
	v_add_f64_e32 v[72:73], v[76:77], v[72:73]
	v_mul_f64_e32 v[76:77], s[24:25], v[108:109]
	s_wait_loadcnt 0x1
	v_add_f64_e64 v[78:79], v[78:79], -v[82:83]
	v_mul_f64_e32 v[82:83], s[16:17], v[96:97]
	v_add_f64_e64 v[76:77], v[76:77], -v[201:202]
	s_delay_alu instid0(VALU_DEP_3) | instskip(SKIP_2) | instid1(VALU_DEP_3)
	v_add_f64_e32 v[62:63], v[78:79], v[66:67]
	v_mul_f64_e32 v[66:67], s[28:29], v[138:139]
	v_mul_f64_e32 v[78:79], s[28:29], v[130:131]
	v_add_f64_e32 v[60:61], v[80:81], v[62:63]
	s_delay_alu instid0(VALU_DEP_3)
	v_add_f64_e64 v[66:67], v[66:67], -v[221:222]
	v_mul_f64_e32 v[62:63], s[16:17], v[158:159]
	v_mul_f64_e32 v[80:81], s[6:7], v[116:117]
	s_wait_loadcnt 0x0
	v_add_f64_e64 v[82:83], v[82:83], -v[84:85]
	v_mul_f64_e32 v[84:85], s[18:19], v[104:105]
	v_add_f64_e64 v[78:79], v[78:79], -v[106:107]
	v_add_f64_e32 v[58:59], v[68:69], v[60:61]
	v_mul_f64_e32 v[60:61], s[16:17], v[148:149]
	v_add_f64_e32 v[62:63], v[231:232], v[62:63]
	v_mul_f64_e32 v[68:69], s[18:19], v[112:113]
	v_add_f64_e32 v[74:75], v[82:83], v[74:75]
	v_add_f64_e64 v[84:85], v[84:85], -v[197:198]
	v_add_f64_e64 v[80:81], v[80:81], -v[245:246]
	v_add_f64_e32 v[66:67], v[66:67], v[58:59]
	v_add_f64_e64 v[60:61], v[60:61], -v[205:206]
	v_add_f64_e32 v[58:59], v[62:63], v[56:57]
	v_add_f64_e32 v[68:69], v[239:240], v[68:69]
	v_mul_f64_e32 v[62:63], s[6:7], v[134:135]
	s_delay_alu instid0(VALU_DEP_4) | instskip(SKIP_1) | instid1(VALU_DEP_4)
	v_add_f64_e32 v[56:57], v[60:61], v[66:67]
	v_mul_f64_e32 v[66:67], s[24:25], v[120:121]
	v_add_f64_e32 v[68:69], v[68:69], v[72:73]
	v_mul_f64_e32 v[60:61], s[28:29], v[144:145]
	v_add_f64_e32 v[62:63], v[110:111], v[62:63]
	v_add_f64_e32 v[72:73], v[84:85], v[74:75]
	v_mul_f64_e32 v[74:75], s[10:11], v[152:153]
	s_clause 0x1
	scratch_load_b64 v[84:85], off, off offset:40 th:TH_LOAD_LU
	scratch_load_b64 v[82:83], off, off offset:8 th:TH_LOAD_LU
	v_add_f64_e32 v[66:67], v[251:252], v[66:67]
	v_add_f64_e32 v[60:61], v[122:123], v[60:61]
	;; [unrolled: 1-line block ×3, first 2 shown]
	s_delay_alu instid0(VALU_DEP_3) | instskip(SKIP_2) | instid1(VALU_DEP_3)
	v_add_f64_e32 v[66:67], v[66:67], v[68:69]
	v_add_f64_e32 v[68:69], v[76:77], v[72:73]
	v_mul_f64_e32 v[72:73], s[10:11], v[138:139]
	v_add_f64_e32 v[62:63], v[62:63], v[66:67]
	s_delay_alu instid0(VALU_DEP_3) | instskip(SKIP_1) | instid1(VALU_DEP_4)
	v_add_f64_e32 v[66:67], v[80:81], v[68:69]
	v_mul_f64_e32 v[68:69], s[22:23], v[158:159]
	v_add_f64_e64 v[72:73], v[72:73], -v[237:238]
	s_clause 0x1
	scratch_load_b64 v[80:81], off, off offset:140 th:TH_LOAD_LU
	scratch_load_b64 v[76:77], off, off offset:72 th:TH_LOAD_LU
	v_add_f64_e32 v[60:61], v[60:61], v[62:63]
	v_add_f64_e32 v[62:63], v[78:79], v[66:67]
	;; [unrolled: 1-line block ×3, first 2 shown]
	v_mul_f64_e32 v[66:67], s[22:23], v[148:149]
	scratch_load_b64 v[78:79], off, off offset:24 th:TH_LOAD_LU ; 8-byte Folded Reload
	v_add_f64_e32 v[60:61], v[74:75], v[60:61]
	v_add_f64_e32 v[72:73], v[72:73], v[62:63]
	scratch_load_b64 v[74:75], off, off offset:104 th:TH_LOAD_LU ; 8-byte Folded Reload
	v_add_f64_e64 v[66:67], v[66:67], -v[229:230]
	v_add_f64_e32 v[62:63], v[68:69], v[60:61]
	scratch_load_b64 v[68:69], off, off offset:188 th:TH_LOAD_LU ; 8-byte Folded Reload
	v_add_f64_e32 v[60:61], v[66:67], v[72:73]
	scratch_load_b64 v[72:73], off, off offset:156 th:TH_LOAD_LU ; 8-byte Folded Reload
	v_mul_f64_e32 v[66:67], s[24:25], v[144:145]
	s_wait_loadcnt 0x1
	s_delay_alu instid0(VALU_DEP_1) | instskip(SKIP_2) | instid1(VALU_DEP_1)
	v_add_f64_e32 v[66:67], v[68:69], v[66:67]
	v_mul_f64_e32 v[68:69], s[22:23], v[134:135]
	s_wait_loadcnt 0x0
	v_add_f64_e32 v[68:69], v[72:73], v[68:69]
	v_mul_f64_e32 v[72:73], s[18:19], v[120:121]
	s_delay_alu instid0(VALU_DEP_1) | instskip(SKIP_1) | instid1(VALU_DEP_1)
	v_add_f64_e32 v[72:73], v[74:75], v[72:73]
	v_mul_f64_e32 v[74:75], s[16:17], v[112:113]
	v_add_f64_e32 v[74:75], v[76:77], v[74:75]
	v_mul_f64_e32 v[76:77], s[10:11], v[100:101]
	s_delay_alu instid0(VALU_DEP_1) | instskip(SKIP_1) | instid1(VALU_DEP_2)
	v_add_f64_e32 v[76:77], v[78:79], v[76:77]
	v_mul_f64_e32 v[78:79], s[24:25], v[130:131]
	v_add_f64_e32 v[64:65], v[76:77], v[64:65]
	s_delay_alu instid0(VALU_DEP_2) | instskip(SKIP_2) | instid1(VALU_DEP_4)
	v_add_f64_e64 v[78:79], v[78:79], -v[80:81]
	v_mul_f64_e32 v[80:81], s[10:11], v[96:97]
	v_mul_f64_e32 v[76:77], s[22:23], v[116:117]
	v_add_f64_e32 v[64:65], v[74:75], v[64:65]
	v_mul_f64_e32 v[74:75], s[26:27], v[152:153]
	s_delay_alu instid0(VALU_DEP_4) | instskip(SKIP_1) | instid1(VALU_DEP_4)
	v_add_f64_e64 v[80:81], v[80:81], -v[82:83]
	v_mul_f64_e32 v[82:83], s[16:17], v[104:105]
	v_add_f64_e32 v[64:65], v[72:73], v[64:65]
	v_mul_f64_e32 v[72:73], s[26:27], v[138:139]
	s_delay_alu instid0(VALU_DEP_4) | instskip(SKIP_4) | instid1(VALU_DEP_3)
	v_add_f64_e32 v[70:71], v[80:81], v[70:71]
	scratch_load_b64 v[80:81], off, off offset:88 th:TH_LOAD_LU ; 8-byte Folded Reload
	v_add_f64_e64 v[82:83], v[82:83], -v[84:85]
	v_mul_f64_e32 v[84:85], s[18:19], v[108:109]
	v_add_f64_e32 v[64:65], v[68:69], v[64:65]
	v_add_f64_e32 v[70:71], v[82:83], v[70:71]
	s_delay_alu instid0(VALU_DEP_3) | instskip(NEXT) | instid1(VALU_DEP_3)
	v_add_f64_e64 v[84:85], v[84:85], -v[86:87]
	v_add_f64_e32 v[64:65], v[66:67], v[64:65]
	s_delay_alu instid0(VALU_DEP_2)
	v_add_f64_e32 v[70:71], v[84:85], v[70:71]
	s_wait_loadcnt 0x0
	v_add_f64_e64 v[76:77], v[76:77], -v[80:81]
	scratch_load_b64 v[80:81], off, off offset:204 th:TH_LOAD_LU ; 8-byte Folded Reload
	v_add_f64_e32 v[68:69], v[76:77], v[70:71]
	scratch_load_b64 v[76:77], off, off offset:212 th:TH_LOAD_LU ; 8-byte Folded Reload
	v_mul_f64_e32 v[70:71], s[28:29], v[158:159]
	v_add_f64_e32 v[66:67], v[78:79], v[68:69]
	v_mul_f64_e32 v[68:69], s[28:29], v[148:149]
	s_wait_loadcnt 0x1
	v_add_f64_e32 v[74:75], v[80:81], v[74:75]
	scratch_load_b64 v[80:81], off, off offset:172 th:TH_LOAD_LU ; 8-byte Folded Reload
	s_wait_loadcnt 0x1
	v_add_f64_e32 v[70:71], v[76:77], v[70:71]
	scratch_load_b64 v[76:77], off, off offset:196 th:TH_LOAD_LU ; 8-byte Folded Reload
	v_add_f64_e32 v[64:65], v[74:75], v[64:65]
	s_wait_loadcnt 0x1
	v_add_f64_e64 v[72:73], v[72:73], -v[80:81]
	s_wait_loadcnt 0x0
	v_add_f64_e64 v[68:69], v[68:69], -v[76:77]
	s_delay_alu instid0(VALU_DEP_2) | instskip(NEXT) | instid1(VALU_DEP_4)
	v_add_f64_e32 v[72:73], v[72:73], v[66:67]
	v_add_f64_e32 v[66:67], v[70:71], v[64:65]
	s_delay_alu instid0(VALU_DEP_2) | instskip(SKIP_1) | instid1(VALU_DEP_1)
	v_add_f64_e32 v[64:65], v[68:69], v[72:73]
	v_mul_lo_u16 v68, v164, 17
	v_and_b32_e32 v68, 0xffff, v68
	s_delay_alu instid0(VALU_DEP_1)
	v_lshlrev_b32_e32 v68, 4, v68
	ds_store_b128 v68, v[40:43] offset:32
	ds_store_b128 v68, v[24:27] offset:160
	ds_store_b128 v68, v[20:23] offset:176
	ds_store_b128 v68, v[16:19] offset:192
	ds_store_b128 v68, v[12:15] offset:208
	ds_store_b128 v68, v[8:11] offset:224
	ds_store_b128 v68, v[4:7] offset:240
	ds_store_b128 v68, v[44:47] offset:48
	ds_store_b128 v68, v[48:51] offset:64
	ds_store_b128 v68, v[52:55] offset:80
	ds_store_b128 v68, v[56:59] offset:96
	ds_store_b128 v68, v[60:63] offset:112
	ds_store_b128 v68, v[36:39] offset:128
	ds_store_b128 v68, v[28:31] offset:144
	ds_store_b128 v68, v[64:67] offset:16
	ds_store_b128 v68, v[32:35]
	ds_store_b128 v68, v[0:3] offset:256
.LBB0_7:
	s_wait_alu 0xfffe
	s_or_b32 exec_lo, exec_lo, s0
	v_and_b32_e32 v28, 0xff, v164
	s_load_b128 s[0:3], s[2:3], 0x0
	global_wb scope:SCOPE_SE
	s_wait_storecnt_dscnt 0x0
	s_wait_kmcnt 0x0
	s_barrier_signal -1
	s_barrier_wait -1
	v_mul_lo_u16 v28, 0xf1, v28
	global_inv scope:SCOPE_SE
	s_mov_b32 s10, 0x134454ff
	s_mov_b32 s11, 0x3fee6f0e
	;; [unrolled: 1-line block ×3, first 2 shown]
	v_lshrrev_b16 v61, 12, v28
	s_wait_alu 0xfffe
	s_mov_b32 s6, s10
	s_mov_b32 s16, 0x4755a5e
	;; [unrolled: 1-line block ×4, first 2 shown]
	v_mul_lo_u16 v28, v61, 17
	s_wait_alu 0xfffe
	s_mov_b32 s14, s16
	s_mov_b32 s18, 0x372fe950
	;; [unrolled: 1-line block ×4, first 2 shown]
	v_sub_nc_u16 v28, v164, v28
	s_mov_b32 s21, 0x3fe9e377
	s_delay_alu instid0(VALU_DEP_1) | instskip(SKIP_1) | instid1(VALU_DEP_2)
	v_and_b32_e32 v60, 0xff, v28
	v_and_b32_e32 v28, 0xffff, v61
	v_mad_co_u64_u32 v[32:33], null, 0x90, v60, s[4:5]
	s_delay_alu instid0(VALU_DEP_2)
	v_mul_u32_u24_e32 v28, 0xaa, v28
	s_clause 0x8
	global_load_b128 v[234:237], v[32:33], off offset:32
	global_load_b128 v[242:245], v[32:33], off offset:64
	;; [unrolled: 1-line block ×4, first 2 shown]
	global_load_b128 v[56:59], v[32:33], off
	global_load_b128 v[230:233], v[32:33], off offset:16
	global_load_b128 v[226:229], v[32:33], off offset:48
	;; [unrolled: 1-line block ×4, first 2 shown]
	ds_load_b128 v[68:71], v255 offset:8160
	ds_load_b128 v[72:75], v255 offset:13600
	;; [unrolled: 1-line block ×6, first 2 shown]
	v_add_lshl_u32 v254, v28, v60, 4
	s_wait_loadcnt_dscnt 0x805
	v_mul_f64_e32 v[92:93], v[68:69], v[236:237]
	s_wait_loadcnt_dscnt 0x704
	v_mul_f64_e32 v[94:95], v[74:75], v[244:245]
	v_mul_f64_e32 v[96:97], v[72:73], v[244:245]
	s_wait_loadcnt_dscnt 0x603
	v_mul_f64_e32 v[98:99], v[76:77], v[240:241]
	s_wait_loadcnt_dscnt 0x502
	v_mul_f64_e32 v[100:101], v[80:81], v[248:249]
	v_mul_f64_e32 v[104:105], v[78:79], v[240:241]
	;; [unrolled: 1-line block ×4, first 2 shown]
	s_wait_loadcnt_dscnt 0x401
	v_mul_f64_e32 v[106:107], v[86:87], v[58:59]
	v_mul_f64_e32 v[108:109], v[84:85], v[58:59]
	v_fma_f64 v[92:93], v[70:71], v[234:235], v[92:93]
	v_fma_f64 v[94:95], v[72:73], v[242:243], -v[94:95]
	v_fma_f64 v[96:97], v[74:75], v[242:243], v[96:97]
	v_fma_f64 v[98:99], v[78:79], v[238:239], v[98:99]
	;; [unrolled: 1-line block ×3, first 2 shown]
	v_fma_f64 v[100:101], v[76:77], v[238:239], -v[104:105]
	v_fma_f64 v[62:63], v[68:69], v[234:235], -v[62:63]
	;; [unrolled: 1-line block ×3, first 2 shown]
	ds_load_b128 v[68:71], v255 offset:10880
	ds_load_b128 v[72:75], v255 offset:16320
	;; [unrolled: 1-line block ×3, first 2 shown]
	s_wait_loadcnt_dscnt 0x303
	v_mul_f64_e32 v[102:103], v[90:91], v[232:233]
	v_mul_f64_e32 v[104:105], v[88:89], v[232:233]
	v_fma_f64 v[84:85], v[84:85], v[56:57], -v[106:107]
	v_fma_f64 v[86:87], v[86:87], v[56:57], v[108:109]
	s_wait_loadcnt_dscnt 0x202
	v_mul_f64_e32 v[110:111], v[70:71], v[228:229]
	v_mul_f64_e32 v[112:113], v[68:69], v[228:229]
	s_wait_loadcnt_dscnt 0x101
	v_mul_f64_e32 v[114:115], v[74:75], v[224:225]
	s_wait_loadcnt_dscnt 0x0
	v_mul_f64_e32 v[116:117], v[78:79], v[66:67]
	v_mul_f64_e32 v[118:119], v[72:73], v[224:225]
	;; [unrolled: 1-line block ×3, first 2 shown]
	v_add_f64_e64 v[138:139], v[92:93], -v[96:97]
	v_add_f64_e32 v[106:107], v[96:97], v[98:99]
	v_add_f64_e32 v[108:109], v[92:93], v[82:83]
	;; [unrolled: 1-line block ×3, first 2 shown]
	v_add_f64_e64 v[130:131], v[62:63], -v[94:95]
	v_add_f64_e32 v[122:123], v[62:63], v[80:81]
	v_add_f64_e64 v[132:133], v[80:81], -v[100:101]
	v_fma_f64 v[88:89], v[88:89], v[230:231], -v[102:103]
	v_fma_f64 v[90:91], v[90:91], v[230:231], v[104:105]
	v_add_f64_e64 v[134:135], v[94:95], -v[62:63]
	v_add_f64_e64 v[136:137], v[100:101], -v[80:81]
	;; [unrolled: 1-line block ×5, first 2 shown]
	v_fma_f64 v[102:103], v[68:69], v[226:227], -v[110:111]
	v_fma_f64 v[104:105], v[70:71], v[226:227], v[112:113]
	v_fma_f64 v[72:73], v[72:73], v[222:223], -v[114:115]
	v_fma_f64 v[76:77], v[76:77], v[64:65], -v[116:117]
	v_fma_f64 v[74:75], v[74:75], v[222:223], v[118:119]
	v_fma_f64 v[78:79], v[78:79], v[64:65], v[120:121]
	v_add_f64_e64 v[110:111], v[92:93], -v[82:83]
	v_add_f64_e64 v[114:115], v[62:63], -v[80:81]
	;; [unrolled: 1-line block ×4, first 2 shown]
	ds_load_b128 v[68:71], v255
	v_add_f64_e32 v[62:63], v[84:85], v[62:63]
	global_wb scope:SCOPE_SE
	s_wait_dscnt 0x0
	s_barrier_signal -1
	s_barrier_wait -1
	v_fma_f64 v[106:107], v[106:107], -0.5, v[86:87]
	v_fma_f64 v[108:109], v[108:109], -0.5, v[86:87]
	;; [unrolled: 1-line block ×3, first 2 shown]
	global_inv scope:SCOPE_SE
	v_fma_f64 v[118:119], v[122:123], -0.5, v[84:85]
	v_add_f64_e32 v[84:85], v[86:87], v[92:93]
	v_add_f64_e32 v[154:155], v[68:69], v[88:89]
	;; [unrolled: 1-line block ×7, first 2 shown]
	v_add_f64_e64 v[156:157], v[90:91], -v[78:79]
	v_add_f64_e64 v[162:163], v[88:89], -v[76:77]
	;; [unrolled: 1-line block ×4, first 2 shown]
	v_add_f64_e32 v[62:63], v[62:63], v[94:95]
	v_fma_f64 v[146:147], v[114:115], s[6:7], v[106:107]
	v_fma_f64 v[148:149], v[116:117], s[10:11], v[108:109]
	;; [unrolled: 1-line block ×8, first 2 shown]
	v_add_f64_e32 v[84:85], v[84:85], v[96:97]
	v_fma_f64 v[86:87], v[122:123], -0.5, v[68:69]
	v_fma_f64 v[68:69], v[124:125], -0.5, v[68:69]
	;; [unrolled: 1-line block ×4, first 2 shown]
	v_add_f64_e32 v[122:123], v[130:131], v[132:133]
	v_add_f64_e32 v[124:125], v[134:135], v[136:137]
	;; [unrolled: 1-line block ×4, first 2 shown]
	v_add_f64_e64 v[138:139], v[78:79], -v[74:75]
	v_add_f64_e64 v[140:141], v[74:75], -v[78:79]
	v_add_f64_e32 v[62:63], v[62:63], v[100:101]
	s_wait_alu 0xfffe
	v_fma_f64 v[130:131], v[116:117], s[14:15], v[146:147]
	v_fma_f64 v[132:133], v[114:115], s[14:15], v[148:149]
	;; [unrolled: 1-line block ×8, first 2 shown]
	v_add_f64_e64 v[114:115], v[88:89], -v[102:103]
	v_add_f64_e64 v[88:89], v[102:103], -v[88:89]
	;; [unrolled: 1-line block ×4, first 2 shown]
	v_add_f64_e32 v[102:103], v[154:155], v[102:103]
	v_add_f64_e32 v[104:105], v[160:161], v[104:105]
	v_add_f64_e64 v[116:117], v[76:77], -v[72:73]
	v_add_f64_e64 v[118:119], v[72:73], -v[76:77]
	v_add_f64_e32 v[84:85], v[84:85], v[98:99]
	v_fma_f64 v[94:95], v[156:157], s[10:11], v[86:87]
	v_fma_f64 v[96:97], v[158:159], s[6:7], v[68:69]
	;; [unrolled: 1-line block ×8, first 2 shown]
	v_add_f64_e32 v[62:63], v[62:63], v[80:81]
	v_fma_f64 v[130:131], v[126:127], s[18:19], v[130:131]
	v_fma_f64 v[132:133], v[128:129], s[18:19], v[132:133]
	;; [unrolled: 1-line block ×8, first 2 shown]
	v_add_f64_e32 v[90:91], v[90:91], v[140:141]
	v_add_f64_e32 v[72:73], v[102:103], v[72:73]
	;; [unrolled: 1-line block ×6, first 2 shown]
	v_fma_f64 v[94:95], v[158:159], s[16:17], v[94:95]
	v_fma_f64 v[96:97], v[156:157], s[16:17], v[96:97]
	;; [unrolled: 1-line block ×8, first 2 shown]
	v_mul_f64_e32 v[102:103], s[16:17], v[130:131]
	v_mul_f64_e32 v[104:105], s[10:11], v[132:133]
	;; [unrolled: 1-line block ×8, first 2 shown]
	v_add_f64_e32 v[72:73], v[72:73], v[76:77]
	v_add_f64_e32 v[74:75], v[74:75], v[78:79]
	;; [unrolled: 1-line block ×3, first 2 shown]
	v_fma_f64 v[94:95], v[114:115], s[18:19], v[94:95]
	v_fma_f64 v[96:97], v[88:89], s[18:19], v[96:97]
	;; [unrolled: 1-line block ×10, first 2 shown]
	v_fma_f64 v[104:105], v[106:107], s[16:17], -v[120:121]
	v_fma_f64 v[106:107], v[130:131], s[20:21], v[122:123]
	v_fma_f64 v[102:103], v[108:109], s[10:11], -v[118:119]
	v_fma_f64 v[108:109], v[132:133], s[18:19], v[124:125]
	v_fma_f64 v[110:111], v[134:135], s[6:7], -v[126:127]
	v_fma_f64 v[112:113], v[136:137], s[14:15], -v[128:129]
	v_add_f64_e32 v[68:69], v[72:73], v[62:63]
	v_add_f64_e64 v[72:73], v[72:73], -v[62:63]
	v_add_f64_e32 v[70:71], v[74:75], v[76:77]
	v_add_f64_e64 v[74:75], v[74:75], -v[76:77]
	v_add_f64_e32 v[76:77], v[94:95], v[92:93]
	v_add_f64_e32 v[80:81], v[96:97], v[100:101]
	v_add_f64_e32 v[88:89], v[114:115], v[104:105]
	v_add_f64_e32 v[78:79], v[98:99], v[106:107]
	v_add_f64_e32 v[84:85], v[138:139], v[102:103]
	v_add_f64_e32 v[82:83], v[140:141], v[108:109]
	v_add_f64_e32 v[86:87], v[142:143], v[110:111]
	v_add_f64_e32 v[90:91], v[116:117], v[112:113]
	v_add_f64_e64 v[92:93], v[94:95], -v[92:93]
	v_add_f64_e64 v[94:95], v[98:99], -v[106:107]
	;; [unrolled: 1-line block ×8, first 2 shown]
	v_mad_co_u64_u32 v[108:109], null, 0x90, v164, s[4:5]
	ds_store_b128 v254, v[68:71]
	ds_store_b128 v254, v[76:79] offset:272
	ds_store_b128 v254, v[80:83] offset:544
	;; [unrolled: 1-line block ×9, first 2 shown]
	global_wb scope:SCOPE_SE
	s_wait_dscnt 0x0
	s_barrier_signal -1
	s_barrier_wait -1
	global_inv scope:SCOPE_SE
	s_clause 0x8
	global_load_b128 v[40:43], v[108:109], off offset:2480
	global_load_b128 v[48:51], v[108:109], off offset:2512
	;; [unrolled: 1-line block ×9, first 2 shown]
	ds_load_b128 v[100:103], v255 offset:8160
	ds_load_b128 v[104:107], v255 offset:13600
	;; [unrolled: 1-line block ×6, first 2 shown]
	s_wait_loadcnt_dscnt 0x805
	v_mul_f64_e32 v[124:125], v[102:103], v[42:43]
	v_mul_f64_e32 v[126:127], v[100:101], v[42:43]
	s_wait_loadcnt_dscnt 0x704
	v_mul_f64_e32 v[128:129], v[106:107], v[50:51]
	v_mul_f64_e32 v[130:131], v[104:105], v[50:51]
	s_wait_loadcnt_dscnt 0x603
	v_mul_f64_e32 v[132:133], v[108:109], v[46:47]
	s_wait_loadcnt_dscnt 0x502
	v_mul_f64_e32 v[134:135], v[112:113], v[54:55]
	v_mul_f64_e32 v[136:137], v[114:115], v[54:55]
	;; [unrolled: 1-line block ×3, first 2 shown]
	s_wait_loadcnt_dscnt 0x401
	v_mul_f64_e32 v[140:141], v[118:119], v[98:99]
	v_mul_f64_e32 v[142:143], v[116:117], v[98:99]
	s_clause 0x3
	scratch_store_b128 off, v[40:43], off offset:56
	scratch_store_b128 off, v[44:47], off offset:72
	;; [unrolled: 1-line block ×4, first 2 shown]
	v_fma_f64 v[124:125], v[100:101], v[40:41], -v[124:125]
	v_fma_f64 v[126:127], v[102:103], v[40:41], v[126:127]
	v_fma_f64 v[128:129], v[104:105], v[48:49], -v[128:129]
	v_fma_f64 v[130:131], v[106:107], v[48:49], v[130:131]
	v_fma_f64 v[132:133], v[110:111], v[44:45], v[132:133]
	v_fma_f64 v[114:115], v[114:115], v[52:53], v[134:135]
	v_fma_f64 v[112:113], v[112:113], v[52:53], -v[136:137]
	v_fma_f64 v[134:135], v[108:109], v[44:45], -v[138:139]
	ds_load_b128 v[100:103], v255 offset:10880
	ds_load_b128 v[104:107], v255 offset:16320
	;; [unrolled: 1-line block ×3, first 2 shown]
	s_wait_loadcnt_dscnt 0x303
	v_mul_f64_e32 v[136:137], v[122:123], v[38:39]
	v_mul_f64_e32 v[138:139], v[120:121], v[38:39]
	v_fma_f64 v[116:117], v[116:117], v[96:97], -v[140:141]
	v_fma_f64 v[118:119], v[118:119], v[96:97], v[142:143]
	scratch_store_b128 off, v[36:39], off offset:40 ; 16-byte Folded Spill
	s_wait_loadcnt 0x2
	scratch_store_b128 off, v[32:35], off offset:24 ; 16-byte Folded Spill
	s_wait_loadcnt 0x1
	scratch_store_b128 off, v[28:31], off offset:8 ; 16-byte Folded Spill
	s_wait_dscnt 0x2
	v_mul_f64_e32 v[144:145], v[102:103], v[34:35]
	v_mul_f64_e32 v[146:147], v[100:101], v[34:35]
	s_wait_dscnt 0x1
	v_mul_f64_e32 v[148:149], v[106:107], v[30:31]
	s_wait_loadcnt_dscnt 0x0
	v_mul_f64_e32 v[150:151], v[110:111], v[252:253]
	v_mul_f64_e32 v[152:153], v[104:105], v[30:31]
	;; [unrolled: 1-line block ×3, first 2 shown]
	v_add_f64_e64 v[166:167], v[124:125], -v[128:129]
	v_add_f64_e64 v[170:171], v[128:129], -v[124:125]
	v_add_f64_e32 v[140:141], v[130:131], v[132:133]
	v_add_f64_e32 v[142:143], v[126:127], v[114:115]
	;; [unrolled: 1-line block ×4, first 2 shown]
	v_add_f64_e64 v[168:169], v[112:113], -v[134:135]
	v_fma_f64 v[120:121], v[120:121], v[36:37], -v[136:137]
	v_fma_f64 v[122:123], v[122:123], v[36:37], v[138:139]
	v_add_f64_e64 v[172:173], v[134:135], -v[112:113]
	v_add_f64_e64 v[174:175], v[126:127], -v[130:131]
	v_add_f64_e64 v[176:177], v[114:115], -v[132:133]
	v_add_f64_e64 v[178:179], v[130:131], -v[126:127]
	v_add_f64_e64 v[180:181], v[132:133], -v[114:115]
	v_fma_f64 v[136:137], v[100:101], v[32:33], -v[144:145]
	v_fma_f64 v[138:139], v[102:103], v[32:33], v[146:147]
	v_fma_f64 v[104:105], v[104:105], v[28:29], -v[148:149]
	v_fma_f64 v[108:109], v[108:109], v[250:251], -v[150:151]
	v_fma_f64 v[106:107], v[106:107], v[28:29], v[152:153]
	v_fma_f64 v[110:111], v[110:111], v[250:251], v[154:155]
	v_add_f64_e64 v[144:145], v[126:127], -v[114:115]
	v_add_f64_e64 v[146:147], v[130:131], -v[132:133]
	;; [unrolled: 1-line block ×4, first 2 shown]
	ds_load_b128 v[100:103], v255
	v_fma_f64 v[140:141], v[140:141], -0.5, v[118:119]
	v_fma_f64 v[142:143], v[142:143], -0.5, v[118:119]
	;; [unrolled: 1-line block ×4, first 2 shown]
	v_add_f64_e32 v[116:117], v[116:117], v[124:125]
	v_add_f64_e32 v[118:119], v[118:119], v[126:127]
	s_wait_dscnt 0x0
	v_add_f64_e32 v[190:191], v[100:101], v[120:121]
	v_add_f64_e32 v[196:197], v[102:103], v[122:123]
	;; [unrolled: 1-line block ×6, first 2 shown]
	v_add_f64_e64 v[192:193], v[122:123], -v[110:111]
	v_add_f64_e64 v[194:195], v[138:139], -v[106:107]
	;; [unrolled: 1-line block ×4, first 2 shown]
	v_fma_f64 v[182:183], v[148:149], s[6:7], v[140:141]
	v_fma_f64 v[184:185], v[150:151], s[10:11], v[142:143]
	;; [unrolled: 1-line block ×8, first 2 shown]
	v_add_f64_e32 v[116:117], v[116:117], v[128:129]
	v_add_f64_e32 v[118:119], v[118:119], v[130:131]
	v_fma_f64 v[124:125], v[156:157], -0.5, v[100:101]
	v_fma_f64 v[100:101], v[158:159], -0.5, v[100:101]
	;; [unrolled: 1-line block ×4, first 2 shown]
	v_add_f64_e32 v[156:157], v[166:167], v[168:169]
	v_add_f64_e32 v[158:159], v[170:171], v[172:173]
	;; [unrolled: 1-line block ×4, first 2 shown]
	v_add_f64_e64 v[174:175], v[110:111], -v[106:107]
	v_add_f64_e64 v[176:177], v[106:107], -v[110:111]
	v_fma_f64 v[166:167], v[150:151], s[14:15], v[182:183]
	v_fma_f64 v[168:169], v[148:149], s[14:15], v[184:185]
	v_fma_f64 v[170:171], v[144:145], s[14:15], v[186:187]
	v_fma_f64 v[172:173], v[146:147], s[14:15], v[188:189]
	v_fma_f64 v[146:147], v[146:147], s[16:17], v[154:155]
	v_fma_f64 v[144:145], v[144:145], s[16:17], v[152:153]
	v_fma_f64 v[142:143], v[148:149], s[16:17], v[142:143]
	v_fma_f64 v[140:141], v[150:151], s[16:17], v[140:141]
	v_add_f64_e64 v[148:149], v[120:121], -v[136:137]
	v_add_f64_e64 v[150:151], v[108:109], -v[104:105]
	;; [unrolled: 1-line block ×6, first 2 shown]
	v_add_f64_e32 v[136:137], v[190:191], v[136:137]
	v_add_f64_e32 v[138:139], v[196:197], v[138:139]
	;; [unrolled: 1-line block ×4, first 2 shown]
	v_fma_f64 v[128:129], v[192:193], s[10:11], v[124:125]
	v_fma_f64 v[124:125], v[192:193], s[6:7], v[124:125]
	;; [unrolled: 1-line block ×16, first 2 shown]
	v_add_f64_e32 v[148:149], v[148:149], v[150:151]
	v_add_f64_e32 v[120:121], v[120:121], v[152:153]
	;; [unrolled: 1-line block ×6, first 2 shown]
	v_fma_f64 v[128:129], v[194:195], s[16:17], v[128:129]
	v_fma_f64 v[124:125], v[194:195], s[14:15], v[124:125]
	;; [unrolled: 1-line block ×8, first 2 shown]
	v_mul_f64_e32 v[136:137], s[16:17], v[166:167]
	v_mul_f64_e32 v[138:139], s[10:11], v[168:169]
	;; [unrolled: 1-line block ×8, first 2 shown]
	v_add_f64_e32 v[104:105], v[104:105], v[108:109]
	v_add_f64_e32 v[106:107], v[106:107], v[110:111]
	;; [unrolled: 1-line block ×4, first 2 shown]
	v_fma_f64 v[128:129], v[148:149], s[18:19], v[128:129]
	v_fma_f64 v[148:149], v[148:149], s[18:19], v[124:125]
	;; [unrolled: 1-line block ×10, first 2 shown]
	v_fma_f64 v[132:133], v[142:143], s[10:11], -v[152:153]
	v_fma_f64 v[138:139], v[140:141], s[16:17], -v[154:155]
	v_fma_f64 v[140:141], v[166:167], s[20:21], v[156:157]
	v_fma_f64 v[142:143], v[168:169], s[18:19], v[158:159]
	v_fma_f64 v[144:145], v[170:171], s[6:7], -v[160:161]
	v_fma_f64 v[146:147], v[172:173], s[14:15], -v[162:163]
	v_add_f64_e32 v[100:101], v[104:105], v[108:109]
	v_add_f64_e32 v[102:103], v[106:107], v[110:111]
	v_add_f64_e64 v[120:121], v[104:105], -v[108:109]
	v_add_f64_e64 v[122:123], v[106:107], -v[110:111]
	v_add_f64_e32 v[104:105], v[128:129], v[124:125]
	v_add_f64_e32 v[108:109], v[130:131], v[126:127]
	;; [unrolled: 1-line block ×8, first 2 shown]
	v_add_f64_e64 v[124:125], v[128:129], -v[124:125]
	v_add_f64_e64 v[128:129], v[130:131], -v[126:127]
	;; [unrolled: 1-line block ×8, first 2 shown]
	ds_store_b128 v255, v[100:103]
	ds_store_b128 v255, v[104:107] offset:2720
	ds_store_b128 v255, v[108:111] offset:5440
	;; [unrolled: 1-line block ×9, first 2 shown]
	global_wb scope:SCOPE_SE
	s_wait_storecnt_dscnt 0x0
	s_barrier_signal -1
	s_barrier_wait -1
	global_inv scope:SCOPE_SE
	s_and_saveexec_b32 s6, vcc_lo
	s_cbranch_execz .LBB0_9
; %bb.8:
	global_load_b128 v[140:143], v255, s[8:9] offset:27200
	s_add_nc_u64 s[4:5], s[8:9], 0x6a40
	s_clause 0x8
	global_load_b128 v[144:147], v255, s[4:5] offset:1600
	global_load_b128 v[148:151], v255, s[4:5] offset:3200
	;; [unrolled: 1-line block ×9, first 2 shown]
	ds_load_b128 v[182:185], v255
	global_load_b128 v[186:189], v255, s[4:5] offset:16000
	ds_load_b128 v[190:193], v255 offset:1600
	ds_load_b128 v[194:197], v255 offset:25600
	s_wait_loadcnt_dscnt 0x901
	v_mul_f64_e32 v[202:203], v[192:193], v[146:147]
	v_mul_f64_e32 v[146:147], v[190:191], v[146:147]
	;; [unrolled: 1-line block ×4, first 2 shown]
	s_delay_alu instid0(VALU_DEP_4) | instskip(NEXT) | instid1(VALU_DEP_4)
	v_fma_f64 v[190:191], v[190:191], v[144:145], -v[202:203]
	v_fma_f64 v[192:193], v[192:193], v[144:145], v[146:147]
	s_delay_alu instid0(VALU_DEP_4) | instskip(NEXT) | instid1(VALU_DEP_4)
	v_fma_f64 v[182:183], v[182:183], v[140:141], -v[198:199]
	v_fma_f64 v[184:185], v[184:185], v[140:141], v[142:143]
	ds_load_b128 v[140:143], v255 offset:3200
	ds_load_b128 v[198:201], v255 offset:4800
	s_wait_loadcnt_dscnt 0x801
	v_mul_f64_e32 v[144:145], v[142:143], v[150:151]
	v_mul_f64_e32 v[146:147], v[140:141], v[150:151]
	s_wait_loadcnt_dscnt 0x700
	v_mul_f64_e32 v[202:203], v[200:201], v[154:155]
	v_mul_f64_e32 v[154:155], v[198:199], v[154:155]
	s_delay_alu instid0(VALU_DEP_4) | instskip(NEXT) | instid1(VALU_DEP_4)
	v_fma_f64 v[140:141], v[140:141], v[148:149], -v[144:145]
	v_fma_f64 v[142:143], v[142:143], v[148:149], v[146:147]
	ds_load_b128 v[144:147], v255 offset:6400
	ds_load_b128 v[148:151], v255 offset:8000
	v_fma_f64 v[198:199], v[198:199], v[152:153], -v[202:203]
	v_fma_f64 v[200:201], v[200:201], v[152:153], v[154:155]
	s_wait_loadcnt_dscnt 0x601
	v_mul_f64_e32 v[152:153], v[146:147], v[158:159]
	v_mul_f64_e32 v[154:155], v[144:145], v[158:159]
	s_wait_loadcnt_dscnt 0x500
	v_mul_f64_e32 v[202:203], v[150:151], v[162:163]
	v_mul_f64_e32 v[162:163], v[148:149], v[162:163]
	s_delay_alu instid0(VALU_DEP_4) | instskip(NEXT) | instid1(VALU_DEP_4)
	v_fma_f64 v[144:145], v[144:145], v[156:157], -v[152:153]
	v_fma_f64 v[146:147], v[146:147], v[156:157], v[154:155]
	ds_load_b128 v[152:155], v255 offset:9600
	ds_load_b128 v[156:159], v255 offset:11200
	v_fma_f64 v[148:149], v[148:149], v[160:161], -v[202:203]
	v_fma_f64 v[150:151], v[150:151], v[160:161], v[162:163]
	;; [unrolled: 13-line block ×3, first 2 shown]
	s_wait_loadcnt_dscnt 0x201
	v_mul_f64_e32 v[170:171], v[162:163], v[176:177]
	v_mul_f64_e32 v[172:173], v[160:161], v[176:177]
	s_wait_loadcnt_dscnt 0x100
	v_mul_f64_e32 v[202:203], v[168:169], v[180:181]
	v_mul_f64_e32 v[180:181], v[166:167], v[180:181]
	s_delay_alu instid0(VALU_DEP_4) | instskip(NEXT) | instid1(VALU_DEP_4)
	v_fma_f64 v[160:161], v[160:161], v[174:175], -v[170:171]
	v_fma_f64 v[162:163], v[162:163], v[174:175], v[172:173]
	ds_load_b128 v[174:177], v255 offset:16000
	global_load_b128 v[170:173], v255, s[4:5] offset:17600
	v_fma_f64 v[166:167], v[166:167], v[178:179], -v[202:203]
	v_fma_f64 v[168:169], v[168:169], v[178:179], v[180:181]
	ds_load_b128 v[178:181], v255 offset:17600
	s_wait_loadcnt_dscnt 0x101
	v_mul_f64_e32 v[202:203], v[176:177], v[188:189]
	v_mul_f64_e32 v[188:189], v[174:175], v[188:189]
	s_delay_alu instid0(VALU_DEP_2) | instskip(NEXT) | instid1(VALU_DEP_2)
	v_fma_f64 v[174:175], v[174:175], v[186:187], -v[202:203]
	v_fma_f64 v[176:177], v[176:177], v[186:187], v[188:189]
	global_load_b128 v[186:189], v255, s[4:5] offset:19200
	s_wait_loadcnt_dscnt 0x100
	v_mul_f64_e32 v[202:203], v[180:181], v[172:173]
	v_mul_f64_e32 v[172:173], v[178:179], v[172:173]
	s_delay_alu instid0(VALU_DEP_2) | instskip(NEXT) | instid1(VALU_DEP_2)
	v_fma_f64 v[178:179], v[178:179], v[170:171], -v[202:203]
	v_fma_f64 v[180:181], v[180:181], v[170:171], v[172:173]
	ds_load_b128 v[170:173], v255 offset:19200
	ds_load_b128 v[202:205], v255 offset:20800
	s_wait_loadcnt_dscnt 0x1
	v_mul_f64_e32 v[206:207], v[172:173], v[188:189]
	v_mul_f64_e32 v[188:189], v[170:171], v[188:189]
	s_delay_alu instid0(VALU_DEP_2) | instskip(NEXT) | instid1(VALU_DEP_2)
	v_fma_f64 v[170:171], v[170:171], v[186:187], -v[206:207]
	v_fma_f64 v[172:173], v[172:173], v[186:187], v[188:189]
	s_clause 0x1
	global_load_b128 v[186:189], v255, s[4:5] offset:20800
	global_load_b128 v[206:209], v255, s[4:5] offset:22400
	s_wait_loadcnt_dscnt 0x100
	v_mul_f64_e32 v[210:211], v[204:205], v[188:189]
	v_mul_f64_e32 v[188:189], v[202:203], v[188:189]
	s_delay_alu instid0(VALU_DEP_2) | instskip(NEXT) | instid1(VALU_DEP_2)
	v_fma_f64 v[202:203], v[202:203], v[186:187], -v[210:211]
	v_fma_f64 v[204:205], v[204:205], v[186:187], v[188:189]
	ds_load_b128 v[186:189], v255 offset:22400
	ds_load_b128 v[210:213], v255 offset:24000
	s_wait_loadcnt_dscnt 0x1
	v_mul_f64_e32 v[214:215], v[188:189], v[208:209]
	v_mul_f64_e32 v[208:209], v[186:187], v[208:209]
	s_delay_alu instid0(VALU_DEP_2) | instskip(NEXT) | instid1(VALU_DEP_2)
	v_fma_f64 v[186:187], v[186:187], v[206:207], -v[214:215]
	v_fma_f64 v[188:189], v[188:189], v[206:207], v[208:209]
	s_clause 0x1
	global_load_b128 v[206:209], v255, s[4:5] offset:24000
	global_load_b128 v[214:217], v255, s[4:5] offset:25600
	s_wait_loadcnt_dscnt 0x100
	v_mul_f64_e32 v[218:219], v[212:213], v[208:209]
	v_mul_f64_e32 v[220:221], v[210:211], v[208:209]
	s_delay_alu instid0(VALU_DEP_2) | instskip(NEXT) | instid1(VALU_DEP_2)
	v_fma_f64 v[208:209], v[210:211], v[206:207], -v[218:219]
	v_fma_f64 v[210:211], v[212:213], v[206:207], v[220:221]
	s_wait_loadcnt 0x0
	v_mul_f64_e32 v[206:207], v[196:197], v[216:217]
	v_mul_f64_e32 v[212:213], v[194:195], v[216:217]
	s_delay_alu instid0(VALU_DEP_2) | instskip(NEXT) | instid1(VALU_DEP_2)
	v_fma_f64 v[194:195], v[194:195], v[214:215], -v[206:207]
	v_fma_f64 v[196:197], v[196:197], v[214:215], v[212:213]
	ds_store_b128 v255, v[182:185]
	ds_store_b128 v255, v[190:193] offset:1600
	ds_store_b128 v255, v[140:143] offset:3200
	;; [unrolled: 1-line block ×16, first 2 shown]
.LBB0_9:
	s_wait_alu 0xfffe
	s_or_b32 exec_lo, exec_lo, s6
	global_wb scope:SCOPE_SE
	s_wait_dscnt 0x0
	s_barrier_signal -1
	s_barrier_wait -1
	global_inv scope:SCOPE_SE
	s_and_saveexec_b32 s4, vcc_lo
	s_cbranch_execz .LBB0_11
; %bb.10:
	ds_load_b128 v[100:103], v255
	ds_load_b128 v[104:107], v255 offset:1600
	ds_load_b128 v[108:111], v255 offset:3200
	ds_load_b128 v[112:115], v255 offset:4800
	ds_load_b128 v[116:119], v255 offset:6400
	ds_load_b128 v[120:123], v255 offset:8000
	ds_load_b128 v[124:127], v255 offset:9600
	ds_load_b128 v[128:131], v255 offset:11200
	ds_load_b128 v[136:139], v255 offset:12800
	ds_load_b128 v[132:135], v255 offset:14400
	ds_load_b128 v[24:27], v255 offset:16000
	ds_load_b128 v[20:23], v255 offset:17600
	ds_load_b128 v[16:19], v255 offset:19200
	ds_load_b128 v[12:15], v255 offset:20800
	ds_load_b128 v[8:11], v255 offset:22400
	ds_load_b128 v[4:7], v255 offset:24000
	ds_load_b128 v[0:3], v255 offset:25600
.LBB0_11:
	s_wait_alu 0xfffe
	s_or_b32 exec_lo, exec_lo, s4
	global_wb scope:SCOPE_SE
	s_wait_dscnt 0x0
	s_barrier_signal -1
	s_barrier_wait -1
	global_inv scope:SCOPE_SE
	s_and_saveexec_b32 s33, vcc_lo
	s_cbranch_execz .LBB0_13
; %bb.12:
	v_add_f64_e32 v[142:143], v[100:101], v[104:105]
	v_add_f64_e32 v[140:141], v[102:103], v[106:107]
	v_add_f64_e64 v[150:151], v[108:109], -v[4:5]
	s_mov_b32 s24, 0x6c9a05f6
	s_mov_b32 s25, 0xbfe9895b
	s_mov_b32 s46, 0x923c349f
	s_mov_b32 s10, 0x6ed5f1bb
	s_mov_b32 s47, 0xbfeec746
	s_mov_b32 s11, 0xbfe348c8
	s_mov_b32 s14, 0xc61f0d01
	s_mov_b32 s15, 0xbfd183b1
	s_mov_b32 s26, 0xeb564b22
	s_mov_b32 s27, 0x3fefdd0d
	s_mov_b32 s43, 0xbfefdd0d
	s_wait_alu 0xfffe
	s_mov_b32 s42, s26
	s_mov_b32 s44, 0x7c9e640b
	;; [unrolled: 1-line block ×5, first 2 shown]
	s_wait_alu 0xfffe
	s_mov_b32 s36, s44
	s_mov_b32 s17, 0x3fb79ee6
	;; [unrolled: 1-line block ×7, first 2 shown]
	s_wait_alu 0xfffe
	s_mov_b32 s48, s34
	s_mov_b32 s20, 0x75d4884
	;; [unrolled: 1-line block ×10, first 2 shown]
	s_wait_alu 0xfffe
	s_mov_b32 s28, s40
	s_mov_b32 s6, 0x910ea3b9
	v_add_f64_e32 v[142:143], v[142:143], v[108:109]
	v_add_f64_e32 v[140:141], v[140:141], v[110:111]
	;; [unrolled: 1-line block ×3, first 2 shown]
	s_mov_b32 s4, 0x7faef3
	s_mov_b32 s22, 0x370991
	;; [unrolled: 1-line block ×5, first 2 shown]
	v_dual_mov_b32 v210, v222 :: v_dual_mov_b32 v211, v223
	v_dual_mov_b32 v212, v224 :: v_dual_mov_b32 v213, v225
	;; [unrolled: 1-line block ×4, first 2 shown]
	s_mov_b32 s51, 0x3fe9895b
	s_mov_b32 s50, s24
	;; [unrolled: 1-line block ×4, first 2 shown]
	v_mul_f64_e32 v[32:33], s[42:43], v[150:151]
	scratch_store_b128 off, v[238:241], off offset:124 ; 16-byte Folded Spill
	v_add_f64_e32 v[142:143], v[142:143], v[112:113]
	v_add_f64_e32 v[140:141], v[140:141], v[114:115]
	s_delay_alu instid0(VALU_DEP_2) | instskip(NEXT) | instid1(VALU_DEP_2)
	v_add_f64_e32 v[142:143], v[142:143], v[116:117]
	v_add_f64_e32 v[140:141], v[140:141], v[118:119]
	s_delay_alu instid0(VALU_DEP_2) | instskip(NEXT) | instid1(VALU_DEP_2)
	;; [unrolled: 3-line block ×5, first 2 shown]
	v_add_f64_e32 v[146:147], v[142:143], v[136:137]
	v_add_f64_e32 v[144:145], v[140:141], v[138:139]
	v_add_f64_e64 v[142:143], v[136:137], -v[132:133]
	v_add_f64_e32 v[140:141], v[138:139], v[134:135]
	v_add_f64_e32 v[136:137], v[136:137], v[132:133]
	v_add_f64_e64 v[138:139], v[138:139], -v[134:135]
	;; [unrolled: 3-line block ×4, first 2 shown]
	v_mul_f64_e32 v[224:225], s[26:27], v[142:143]
	v_mul_f64_e32 v[226:227], s[26:27], v[138:139]
	;; [unrolled: 1-line block ×5, first 2 shown]
	v_add_f64_e32 v[146:147], v[146:147], v[24:25]
	v_add_f64_e32 v[148:149], v[144:145], v[26:27]
	v_add_f64_e64 v[144:145], v[124:125], -v[20:21]
	v_add_f64_e32 v[26:27], v[126:127], v[22:23]
	v_add_f64_e32 v[24:25], v[124:125], v[20:21]
	v_add_f64_e64 v[124:125], v[126:127], -v[22:23]
	v_add_f64_e64 v[126:127], v[120:121], -v[16:17]
	v_mul_f64_e32 v[84:85], s[42:43], v[130:131]
	s_wait_alu 0xfffe
	v_fma_f64 v[30:31], v[140:141], s[4:5], -v[28:29]
	v_fma_f64 v[62:63], v[140:141], s[22:23], -v[60:61]
	v_add_f64_e32 v[146:147], v[146:147], v[20:21]
	v_add_f64_e32 v[148:149], v[148:149], v[22:23]
	;; [unrolled: 1-line block ×4, first 2 shown]
	v_add_f64_e64 v[120:121], v[122:123], -v[18:19]
	v_add_f64_e64 v[122:123], v[116:117], -v[12:13]
	v_mul_f64_e32 v[240:241], s[46:47], v[126:127]
	v_mul_f64_e32 v[52:53], s[52:53], v[144:145]
	;; [unrolled: 1-line block ×3, first 2 shown]
	v_fma_f64 v[86:87], v[128:129], s[16:17], v[84:85]
	v_add_f64_e32 v[146:147], v[146:147], v[16:17]
	v_add_f64_e32 v[148:149], v[148:149], v[18:19]
	;; [unrolled: 1-line block ×4, first 2 shown]
	v_add_f64_e64 v[118:119], v[118:119], -v[14:15]
	v_add_f64_e32 v[116:117], v[114:115], v[10:11]
	v_add_f64_e64 v[114:115], v[114:115], -v[10:11]
	v_mul_f64_e32 v[44:45], s[30:31], v[122:123]
	v_fma_f64 v[54:55], v[26:27], s[14:15], -v[52:53]
	v_mul_f64_e32 v[76:77], s[34:35], v[120:121]
	v_fma_f64 v[82:83], v[24:25], s[22:23], v[80:81]
	v_mul_f64_e32 v[92:93], s[40:41], v[122:123]
	v_add_f64_e32 v[12:13], v[146:147], v[12:13]
	v_add_f64_e32 v[14:15], v[148:149], v[14:15]
	v_add_f64_e64 v[146:147], v[112:113], -v[8:9]
	v_add_f64_e32 v[112:113], v[112:113], v[8:9]
	v_add_f64_e64 v[148:149], v[110:111], -v[6:7]
	v_add_f64_e32 v[110:111], v[110:111], v[6:7]
	v_mul_f64_e32 v[72:73], s[52:53], v[118:119]
	v_fma_f64 v[46:47], v[18:19], s[4:5], -v[44:45]
	v_mul_f64_e32 v[88:89], s[52:53], v[114:115]
	v_fma_f64 v[78:79], v[20:21], s[20:21], v[76:77]
	v_fma_f64 v[94:95], v[18:19], s[22:23], -v[92:93]
	v_add_f64_e32 v[8:9], v[12:13], v[8:9]
	v_add_f64_e32 v[10:11], v[14:15], v[10:11]
	;; [unrolled: 1-line block ×4, first 2 shown]
	v_mul_f64_e32 v[40:41], s[24:25], v[146:147]
	v_fma_f64 v[34:35], v[110:111], s[16:17], -v[32:33]
	v_mul_f64_e32 v[36:37], s[42:43], v[148:149]
	v_fma_f64 v[74:75], v[16:17], s[14:15], v[72:73]
	v_fma_f64 v[90:91], v[112:113], s[14:15], v[88:89]
	v_add_f64_e32 v[4:5], v[8:9], v[4:5]
	v_add_f64_e64 v[8:9], v[104:105], -v[0:1]
	v_add_f64_e32 v[6:7], v[10:11], v[6:7]
	v_add_f64_e64 v[10:11], v[106:107], -v[2:3]
	v_fma_f64 v[42:43], v[116:117], s[10:11], -v[40:41]
	v_fma_f64 v[38:39], v[108:109], s[16:17], v[36:37]
	v_add_f64_e32 v[0:1], v[4:5], v[0:1]
	v_mul_f64_e32 v[104:105], s[24:25], v[8:9]
	v_add_f64_e32 v[2:3], v[6:7], v[2:3]
	v_mul_f64_e32 v[106:107], s[46:47], v[8:9]
	v_mul_f64_e32 v[180:181], s[46:47], v[10:11]
	;; [unrolled: 1-line block ×13, first 2 shown]
	v_fma_f64 v[162:163], v[12:13], s[10:11], v[104:105]
	v_fma_f64 v[104:105], v[12:13], s[10:11], -v[104:105]
	scratch_store_b128 off, v[0:3], off offset:140 ; 16-byte Folded Spill
	v_fma_f64 v[166:167], v[12:13], s[14:15], v[106:107]
	v_fma_f64 v[194:195], v[14:15], s[14:15], -v[180:181]
	v_fma_f64 v[196:197], v[14:15], s[16:17], -v[182:183]
	;; [unrolled: 1-line block ×3, first 2 shown]
	v_fma_f64 v[154:155], v[12:13], s[18:19], v[154:155]
	v_fma_f64 v[198:199], v[14:15], s[18:19], v[184:185]
	v_fma_f64 v[184:185], v[14:15], s[18:19], -v[184:185]
	v_fma_f64 v[172:173], v[12:13], s[20:21], -v[156:157]
	v_fma_f64 v[156:157], v[12:13], s[20:21], v[156:157]
	v_fma_f64 v[200:201], v[14:15], s[20:21], v[186:187]
	v_fma_f64 v[186:187], v[14:15], s[20:21], -v[186:187]
	v_fma_f64 v[158:159], v[12:13], s[4:5], v[4:5]
	v_fma_f64 v[4:5], v[12:13], s[4:5], -v[4:5]
	;; [unrolled: 2-line block ×3, first 2 shown]
	v_fma_f64 v[106:107], v[12:13], s[14:15], -v[106:107]
	v_fma_f64 v[168:169], v[12:13], s[16:17], v[152:153]
	v_fma_f64 v[152:153], v[12:13], s[16:17], -v[152:153]
	v_fma_f64 v[174:175], v[12:13], s[22:23], -v[8:9]
	v_fma_f64 v[8:9], v[12:13], s[22:23], v[8:9]
	v_mul_f64_e32 v[12:13], s[30:31], v[10:11]
	v_mul_f64_e32 v[10:11], s[28:29], v[10:11]
	v_fma_f64 v[190:191], v[14:15], s[6:7], -v[176:177]
	v_fma_f64 v[176:177], v[14:15], s[6:7], v[176:177]
	v_fma_f64 v[192:193], v[14:15], s[10:11], -v[178:179]
	v_fma_f64 v[178:179], v[14:15], s[10:11], v[178:179]
	v_fma_f64 v[180:181], v[14:15], s[14:15], v[180:181]
	;; [unrolled: 1-line block ×3, first 2 shown]
	v_add_f64_e32 v[162:163], v[102:103], v[162:163]
	v_add_f64_e32 v[0:1], v[102:103], v[104:105]
	v_add_f64_e32 v[170:171], v[102:103], v[170:171]
	v_add_f64_e32 v[198:199], v[100:101], v[198:199]
	v_add_f64_e32 v[160:161], v[102:103], v[160:161]
	v_add_f64_e32 v[204:205], v[102:103], v[6:7]
	v_add_f64_e32 v[104:105], v[102:103], v[106:107]
	v_add_f64_e32 v[106:107], v[102:103], v[168:169]
	v_add_f64_e32 v[214:215], v[102:103], v[152:153]
	v_add_f64_e32 v[168:169], v[102:103], v[174:175]
	v_add_f64_e32 v[174:175], v[100:101], v[200:201]
	v_fma_f64 v[188:189], v[14:15], s[4:5], -v[12:13]
	v_fma_f64 v[12:13], v[14:15], s[4:5], v[12:13]
	v_fma_f64 v[202:203], v[14:15], s[22:23], v[10:11]
	v_fma_f64 v[10:11], v[14:15], s[22:23], -v[10:11]
	v_add_f64_e32 v[14:15], v[102:103], v[158:159]
	v_add_f64_e32 v[190:191], v[100:101], v[190:191]
	;; [unrolled: 1-line block ×4, first 2 shown]
	v_mul_f64_e32 v[200:201], s[46:47], v[120:121]
	v_add_f64_e32 v[182:183], v[100:101], v[182:183]
	v_add_f64_e32 v[178:179], v[100:101], v[178:179]
	;; [unrolled: 1-line block ×3, first 2 shown]
	scratch_store_b64 off, v[0:1], off offset:292 ; 8-byte Folded Spill
	v_add_f64_e32 v[0:1], v[102:103], v[166:167]
	v_add_f64_e32 v[166:167], v[102:103], v[172:173]
	;; [unrolled: 1-line block ×7, first 2 shown]
	scratch_store_b64 off, v[0:1], off offset:284 ; 8-byte Folded Spill
	v_add_f64_e32 v[0:1], v[100:101], v[194:195]
	v_add_f64_e32 v[34:35], v[34:35], v[166:167]
	scratch_store_b64 off, v[0:1], off offset:276 ; 8-byte Folded Spill
	v_add_f64_e32 v[0:1], v[100:101], v[196:197]
	v_dual_mov_b32 v194, v230 :: v_dual_mov_b32 v195, v231
	v_dual_mov_b32 v196, v232 :: v_dual_mov_b32 v197, v233
	v_mul_f64_e32 v[230:231], s[44:45], v[138:139]
	v_add_f64_e32 v[34:35], v[42:43], v[34:35]
	v_mul_f64_e32 v[42:43], s[24:25], v[114:115]
	scratch_store_b64 off, v[0:1], off offset:252 ; 8-byte Folded Spill
	v_add_f64_e32 v[0:1], v[102:103], v[154:155]
	v_add_f64_e32 v[34:35], v[46:47], v[34:35]
	v_fma_f64 v[166:167], v[112:113], s[10:11], v[42:43]
	v_mul_f64_e32 v[46:47], s[30:31], v[118:119]
	scratch_store_b64 off, v[0:1], off offset:244 ; 8-byte Folded Spill
	v_add_f64_e32 v[0:1], v[100:101], v[184:185]
	v_mul_f64_e32 v[184:185], s[24:25], v[124:125]
	v_add_f64_e32 v[38:39], v[166:167], v[38:39]
	v_fma_f64 v[166:167], v[16:17], s[4:5], v[46:47]
	scratch_store_b64 off, v[0:1], off offset:236 ; 8-byte Folded Spill
	v_add_f64_e32 v[0:1], v[102:103], v[156:157]
	v_add_f64_e32 v[38:39], v[166:167], v[38:39]
	scratch_store_b64 off, v[0:1], off offset:212 ; 8-byte Folded Spill
	v_add_f64_e32 v[0:1], v[100:101], v[186:187]
	scratch_store_b64 off, v[0:1], off offset:204 ; 8-byte Folded Spill
	v_add_f64_e32 v[0:1], v[102:103], v[8:9]
	v_mul_f64_e32 v[8:9], s[40:41], v[150:151]
	v_mul_f64_e32 v[102:103], s[38:39], v[130:131]
	scratch_store_b64 off, v[0:1], off offset:196 ; 8-byte Folded Spill
	v_fma_f64 v[4:5], v[110:111], s[22:23], v[8:9]
	v_add_f64_e32 v[0:1], v[100:101], v[10:11]
	v_mul_f64_e32 v[10:11], s[40:41], v[148:149]
	v_fma_f64 v[8:9], v[110:111], s[22:23], -v[8:9]
	s_delay_alu instid0(VALU_DEP_4) | instskip(SKIP_1) | instid1(VALU_DEP_4)
	v_add_f64_e32 v[4:5], v[4:5], v[14:15]
	v_mul_f64_e32 v[14:15], s[38:39], v[146:147]
	v_fma_f64 v[6:7], v[108:109], s[22:23], -v[10:11]
	v_fma_f64 v[10:11], v[108:109], s[22:23], v[10:11]
	v_add_f64_e32 v[8:9], v[8:9], v[188:189]
	scratch_store_b64 off, v[0:1], off offset:188 ; 8-byte Folded Spill
	v_fma_f64 v[152:153], v[116:117], s[6:7], v[14:15]
	v_add_f64_e32 v[6:7], v[6:7], v[158:159]
	v_add_f64_e32 v[10:11], v[10:11], v[12:13]
	v_fma_f64 v[12:13], v[116:117], s[6:7], -v[14:15]
	v_fma_f64 v[14:15], v[136:137], s[16:17], v[226:227]
	v_add_f64_e32 v[4:5], v[152:153], v[4:5]
	v_mul_f64_e32 v[152:153], s[38:39], v[114:115]
	s_delay_alu instid0(VALU_DEP_4) | instskip(NEXT) | instid1(VALU_DEP_2)
	v_add_f64_e32 v[8:9], v[12:13], v[8:9]
	v_fma_f64 v[154:155], v[112:113], s[6:7], -v[152:153]
	v_fma_f64 v[12:13], v[112:113], s[6:7], v[152:153]
	v_mul_f64_e32 v[152:153], s[44:45], v[150:151]
	s_delay_alu instid0(VALU_DEP_3) | instskip(SKIP_1) | instid1(VALU_DEP_4)
	v_add_f64_e32 v[6:7], v[154:155], v[6:7]
	v_mul_f64_e32 v[154:155], s[34:35], v[122:123]
	v_add_f64_e32 v[10:11], v[12:13], v[10:11]
	s_delay_alu instid0(VALU_DEP_2) | instskip(SKIP_2) | instid1(VALU_DEP_3)
	v_fma_f64 v[156:157], v[18:19], s[20:21], v[154:155]
	v_fma_f64 v[12:13], v[18:19], s[20:21], -v[154:155]
	v_mul_f64_e32 v[154:155], s[44:45], v[148:149]
	v_add_f64_e32 v[4:5], v[156:157], v[4:5]
	v_mul_f64_e32 v[156:157], s[34:35], v[118:119]
	s_delay_alu instid0(VALU_DEP_4) | instskip(NEXT) | instid1(VALU_DEP_2)
	v_add_f64_e32 v[8:9], v[12:13], v[8:9]
	v_fma_f64 v[158:159], v[16:17], s[20:21], -v[156:157]
	v_fma_f64 v[12:13], v[16:17], s[20:21], v[156:157]
	v_mul_f64_e32 v[156:157], s[42:43], v[146:147]
	s_delay_alu instid0(VALU_DEP_3) | instskip(SKIP_1) | instid1(VALU_DEP_4)
	v_add_f64_e32 v[6:7], v[158:159], v[6:7]
	v_mul_f64_e32 v[158:159], s[24:25], v[126:127]
	v_add_f64_e32 v[10:11], v[12:13], v[10:11]
	s_delay_alu instid0(VALU_DEP_2) | instskip(SKIP_3) | instid1(VALU_DEP_4)
	v_fma_f64 v[186:187], v[22:23], s[10:11], v[158:159]
	v_fma_f64 v[12:13], v[22:23], s[10:11], -v[158:159]
	v_fma_f64 v[158:159], v[116:117], s[16:17], v[156:157]
	v_fma_f64 v[156:157], v[116:117], s[16:17], -v[156:157]
	v_add_f64_e32 v[4:5], v[186:187], v[4:5]
	v_mul_f64_e32 v[186:187], s[24:25], v[120:121]
	v_add_f64_e32 v[8:9], v[12:13], v[8:9]
	s_delay_alu instid0(VALU_DEP_2) | instskip(SKIP_1) | instid1(VALU_DEP_2)
	v_fma_f64 v[202:203], v[20:21], s[10:11], -v[186:187]
	v_fma_f64 v[12:13], v[20:21], s[10:11], v[186:187]
	v_add_f64_e32 v[6:7], v[202:203], v[6:7]
	v_mul_f64_e32 v[202:203], s[44:45], v[144:145]
	s_delay_alu instid0(VALU_DEP_3) | instskip(NEXT) | instid1(VALU_DEP_2)
	v_add_f64_e32 v[10:11], v[12:13], v[10:11]
	v_fma_f64 v[216:217], v[26:27], s[18:19], v[202:203]
	v_fma_f64 v[12:13], v[26:27], s[18:19], -v[202:203]
	s_delay_alu instid0(VALU_DEP_2) | instskip(SKIP_1) | instid1(VALU_DEP_3)
	v_add_f64_e32 v[4:5], v[216:217], v[4:5]
	v_mul_f64_e32 v[216:217], s[44:45], v[124:125]
	v_add_f64_e32 v[8:9], v[12:13], v[8:9]
	s_delay_alu instid0(VALU_DEP_2) | instskip(SKIP_1) | instid1(VALU_DEP_2)
	v_fma_f64 v[218:219], v[24:25], s[18:19], -v[216:217]
	v_fma_f64 v[12:13], v[24:25], s[18:19], v[216:217]
	v_add_f64_e32 v[6:7], v[218:219], v[6:7]
	v_mul_f64_e32 v[218:219], s[46:47], v[134:135]
	s_delay_alu instid0(VALU_DEP_3) | instskip(NEXT) | instid1(VALU_DEP_2)
	v_add_f64_e32 v[10:11], v[12:13], v[10:11]
	v_fma_f64 v[220:221], v[132:133], s[14:15], v[218:219]
	v_fma_f64 v[12:13], v[132:133], s[14:15], -v[218:219]
	s_delay_alu instid0(VALU_DEP_2) | instskip(SKIP_1) | instid1(VALU_DEP_3)
	v_add_f64_e32 v[4:5], v[220:221], v[4:5]
	v_mul_f64_e32 v[220:221], s[46:47], v[130:131]
	v_add_f64_e32 v[8:9], v[12:13], v[8:9]
	s_delay_alu instid0(VALU_DEP_2) | instskip(SKIP_1) | instid1(VALU_DEP_2)
	v_fma_f64 v[222:223], v[128:129], s[14:15], -v[220:221]
	v_fma_f64 v[12:13], v[128:129], s[14:15], v[220:221]
	v_add_f64_e32 v[222:223], v[222:223], v[6:7]
	v_fma_f64 v[6:7], v[140:141], s[16:17], v[224:225]
	s_delay_alu instid0(VALU_DEP_3) | instskip(SKIP_2) | instid1(VALU_DEP_4)
	v_add_f64_e32 v[12:13], v[12:13], v[10:11]
	v_fma_f64 v[10:11], v[140:141], s[16:17], -v[224:225]
	v_mul_f64_e32 v[224:225], s[46:47], v[142:143]
	v_add_f64_e32 v[2:3], v[6:7], v[4:5]
	v_fma_f64 v[4:5], v[136:137], s[16:17], -v[226:227]
	v_mul_f64_e32 v[226:227], s[46:47], v[138:139]
	s_mov_b32 s47, 0x3fe0d888
	s_mov_b32 s46, s38
	s_wait_alu 0xfffe
	v_mul_f64_e32 v[48:49], s[46:47], v[126:127]
	s_delay_alu instid0(VALU_DEP_3) | instskip(SKIP_1) | instid1(VALU_DEP_3)
	v_add_f64_e32 v[0:1], v[4:5], v[222:223]
	v_mul_f64_e32 v[4:5], s[38:39], v[124:125]
	v_fma_f64 v[50:51], v[22:23], s[6:7], -v[48:49]
	scratch_store_b128 off, v[0:3], off offset:156 ; 16-byte Folded Spill
	v_add_f64_e32 v[0:1], v[14:15], v[12:13]
	v_fma_f64 v[12:13], v[110:111], s[18:19], v[152:153]
	v_fma_f64 v[14:15], v[108:109], s[18:19], -v[154:155]
	v_fma_f64 v[152:153], v[110:111], s[18:19], -v[152:153]
	v_fma_f64 v[154:155], v[108:109], s[18:19], v[154:155]
	v_add_f64_e32 v[2:3], v[10:11], v[8:9]
	v_add_f64_e32 v[34:35], v[50:51], v[34:35]
	v_mul_f64_e32 v[50:51], s[46:47], v[120:121]
	v_fma_f64 v[6:7], v[24:25], s[6:7], v[4:5]
	v_mov_b32_e32 v8, v164
	v_mul_f64_e32 v[164:165], s[50:51], v[130:131]
	v_fma_f64 v[4:5], v[24:25], s[6:7], -v[4:5]
	v_add_f64_e32 v[12:13], v[12:13], v[160:161]
	v_add_f64_e32 v[14:15], v[14:15], v[190:191]
	;; [unrolled: 1-line block ×4, first 2 shown]
	scratch_store_b128 off, v[0:3], off offset:172 ; 16-byte Folded Spill
	v_mul_f64_e32 v[204:205], s[38:39], v[118:119]
	v_fma_f64 v[166:167], v[20:21], s[6:7], v[50:51]
	v_add_f64_e32 v[34:35], v[54:55], v[34:35]
	v_mul_f64_e32 v[54:55], s[52:53], v[124:125]
	v_add_f64_e32 v[12:13], v[158:159], v[12:13]
	v_mul_f64_e32 v[158:159], s[42:43], v[114:115]
	v_add_f64_e32 v[152:153], v[156:157], v[152:153]
	v_add_f64_e32 v[38:39], v[166:167], v[38:39]
	v_fma_f64 v[166:167], v[24:25], s[14:15], v[54:55]
	s_delay_alu instid0(VALU_DEP_4) | instskip(SKIP_2) | instid1(VALU_DEP_4)
	v_fma_f64 v[160:161], v[112:113], s[16:17], -v[158:159]
	v_fma_f64 v[156:157], v[112:113], s[16:17], v[158:159]
	v_fma_f64 v[158:159], v[136:137], s[14:15], v[226:227]
	v_add_f64_e32 v[38:39], v[166:167], v[38:39]
	s_delay_alu instid0(VALU_DEP_4) | instskip(SKIP_2) | instid1(VALU_DEP_2)
	v_add_f64_e32 v[14:15], v[160:161], v[14:15]
	v_mul_f64_e32 v[160:161], s[50:51], v[122:123]
	v_add_f64_e32 v[154:155], v[156:157], v[154:155]
	v_fma_f64 v[186:187], v[18:19], s[10:11], v[160:161]
	v_fma_f64 v[156:157], v[18:19], s[10:11], -v[160:161]
	s_delay_alu instid0(VALU_DEP_2) | instskip(SKIP_1) | instid1(VALU_DEP_3)
	v_add_f64_e32 v[12:13], v[186:187], v[12:13]
	v_mul_f64_e32 v[186:187], s[50:51], v[118:119]
	v_add_f64_e32 v[152:153], v[156:157], v[152:153]
	s_delay_alu instid0(VALU_DEP_2) | instskip(SKIP_2) | instid1(VALU_DEP_3)
	v_fma_f64 v[188:189], v[16:17], s[10:11], -v[186:187]
	v_fma_f64 v[156:157], v[16:17], s[10:11], v[186:187]
	v_mul_f64_e32 v[186:187], s[52:53], v[150:151]
	v_add_f64_e32 v[14:15], v[188:189], v[14:15]
	v_mul_f64_e32 v[188:189], s[28:29], v[126:127]
	s_delay_alu instid0(VALU_DEP_4) | instskip(NEXT) | instid1(VALU_DEP_2)
	v_add_f64_e32 v[154:155], v[156:157], v[154:155]
	v_fma_f64 v[190:191], v[22:23], s[22:23], v[188:189]
	v_fma_f64 v[156:157], v[22:23], s[22:23], -v[188:189]
	v_mul_f64_e32 v[188:189], s[52:53], v[148:149]
	s_delay_alu instid0(VALU_DEP_3) | instskip(SKIP_1) | instid1(VALU_DEP_4)
	v_add_f64_e32 v[12:13], v[190:191], v[12:13]
	v_mul_f64_e32 v[190:191], s[28:29], v[120:121]
	v_add_f64_e32 v[152:153], v[156:157], v[152:153]
	s_delay_alu instid0(VALU_DEP_2) | instskip(SKIP_2) | instid1(VALU_DEP_3)
	v_fma_f64 v[202:203], v[20:21], s[22:23], -v[190:191]
	v_fma_f64 v[156:157], v[20:21], s[22:23], v[190:191]
	v_mul_f64_e32 v[190:191], s[28:29], v[146:147]
	v_add_f64_e32 v[14:15], v[202:203], v[14:15]
	v_mul_f64_e32 v[202:203], s[30:31], v[144:145]
	s_delay_alu instid0(VALU_DEP_4) | instskip(NEXT) | instid1(VALU_DEP_4)
	v_add_f64_e32 v[154:155], v[156:157], v[154:155]
	v_fma_f64 v[160:161], v[116:117], s[22:23], v[190:191]
	s_delay_alu instid0(VALU_DEP_3) | instskip(SKIP_2) | instid1(VALU_DEP_3)
	v_fma_f64 v[216:217], v[26:27], s[4:5], v[202:203]
	v_fma_f64 v[156:157], v[26:27], s[4:5], -v[202:203]
	v_mul_f64_e32 v[202:203], s[38:39], v[122:123]
	v_add_f64_e32 v[12:13], v[216:217], v[12:13]
	v_mul_f64_e32 v[216:217], s[30:31], v[124:125]
	s_delay_alu instid0(VALU_DEP_4) | instskip(NEXT) | instid1(VALU_DEP_2)
	v_add_f64_e32 v[152:153], v[156:157], v[152:153]
	v_fma_f64 v[218:219], v[24:25], s[4:5], -v[216:217]
	v_fma_f64 v[156:157], v[24:25], s[4:5], v[216:217]
	v_mul_f64_e32 v[216:217], s[26:27], v[126:127]
	s_delay_alu instid0(VALU_DEP_3) | instskip(SKIP_1) | instid1(VALU_DEP_4)
	v_add_f64_e32 v[14:15], v[218:219], v[14:15]
	v_mul_f64_e32 v[218:219], s[34:35], v[134:135]
	v_add_f64_e32 v[154:155], v[156:157], v[154:155]
	s_delay_alu instid0(VALU_DEP_2) | instskip(SKIP_2) | instid1(VALU_DEP_3)
	v_fma_f64 v[220:221], v[132:133], s[20:21], v[218:219]
	v_fma_f64 v[156:157], v[132:133], s[20:21], -v[218:219]
	v_mul_f64_e32 v[218:219], s[26:27], v[120:121]
	v_add_f64_e32 v[12:13], v[220:221], v[12:13]
	v_mul_f64_e32 v[220:221], s[34:35], v[130:131]
	s_delay_alu instid0(VALU_DEP_4) | instskip(NEXT) | instid1(VALU_DEP_2)
	v_add_f64_e32 v[152:153], v[156:157], v[152:153]
	v_fma_f64 v[222:223], v[128:129], s[20:21], -v[220:221]
	v_fma_f64 v[156:157], v[128:129], s[20:21], v[220:221]
	v_mul_f64_e32 v[220:221], s[48:49], v[144:145]
	s_delay_alu instid0(VALU_DEP_3) | instskip(SKIP_1) | instid1(VALU_DEP_4)
	v_add_f64_e32 v[222:223], v[222:223], v[14:15]
	v_fma_f64 v[14:15], v[140:141], s[14:15], v[224:225]
	v_add_f64_e32 v[156:157], v[156:157], v[154:155]
	v_fma_f64 v[154:155], v[140:141], s[14:15], -v[224:225]
	v_mul_f64_e32 v[224:225], s[30:31], v[134:135]
	s_delay_alu instid0(VALU_DEP_4) | instskip(SKIP_2) | instid1(VALU_DEP_2)
	v_add_f64_e32 v[2:3], v[14:15], v[12:13]
	v_fma_f64 v[12:13], v[136:137], s[14:15], -v[226:227]
	v_mul_f64_e32 v[226:227], s[30:31], v[130:131]
	v_add_f64_e32 v[0:1], v[12:13], v[222:223]
	v_mul_f64_e32 v[222:223], s[48:49], v[124:125]
	v_dual_mov_b32 v12, v64 :: v_dual_mov_b32 v13, v65
	v_dual_mov_b32 v14, v66 :: v_dual_mov_b32 v15, v67
	v_mul_f64_e32 v[64:65], s[24:25], v[148:149]
	scratch_store_b128 off, v[0:3], off offset:220 ; 16-byte Folded Spill
	v_add_f64_e32 v[0:1], v[158:159], v[156:157]
	v_fma_f64 v[156:157], v[110:111], s[14:15], v[186:187]
	v_fma_f64 v[158:159], v[108:109], s[14:15], -v[188:189]
	v_add_f64_e32 v[2:3], v[154:155], v[152:153]
	v_dual_mov_b32 v152, v234 :: v_dual_mov_b32 v153, v235
	v_dual_mov_b32 v154, v236 :: v_dual_mov_b32 v155, v237
	;; [unrolled: 1-line block ×4, first 2 shown]
	v_mul_f64_e32 v[56:57], s[44:45], v[134:135]
	v_fma_f64 v[66:67], v[108:109], s[10:11], v[64:65]
	v_dual_mov_b32 v239, v99 :: v_dual_mov_b32 v238, v98
	v_dual_mov_b32 v237, v97 :: v_dual_mov_b32 v236, v96
	v_mul_f64_e32 v[96:97], s[36:37], v[126:127]
	v_add_f64_e32 v[156:157], v[156:157], v[162:163]
	v_add_f64_e32 v[158:159], v[158:159], v[192:193]
	v_mul_f64_e32 v[192:193], s[28:29], v[114:115]
	scratch_store_b128 off, v[0:3], off offset:260 ; 16-byte Folded Spill
	v_mul_f64_e32 v[0:1], s[48:49], v[150:151]
	v_mul_f64_e32 v[2:3], s[34:35], v[142:143]
	v_fma_f64 v[58:59], v[132:133], s[18:19], -v[56:57]
	v_add_f64_e32 v[66:67], v[66:67], v[198:199]
	v_fma_f64 v[98:99], v[22:23], s[18:19], -v[96:97]
	v_add_f64_e32 v[156:157], v[160:161], v[156:157]
	v_fma_f64 v[160:161], v[112:113], s[22:23], -v[192:193]
	scratch_store_b64 off, v[0:1], off offset:300 ; 8-byte Folded Spill
	v_fma_f64 v[10:11], v[140:141], s[20:21], -v[2:3]
	v_fma_f64 v[2:3], v[140:141], s[20:21], v[2:3]
	v_add_f64_e32 v[34:35], v[58:59], v[34:35]
	v_mul_f64_e32 v[58:59], s[44:45], v[130:131]
	s_mov_b32 s45, 0x3fc7851a
	s_mov_b32 s44, s30
	v_mul_f64_e32 v[130:131], s[28:29], v[130:131]
	s_wait_alu 0xfffe
	v_mul_f64_e32 v[68:69], s[44:45], v[114:115]
	v_mul_f64_e32 v[198:199], s[44:45], v[146:147]
	v_add_f64_e32 v[158:159], v[160:161], v[158:159]
	v_fma_f64 v[160:161], v[18:19], s[6:7], v[202:203]
	v_fma_f64 v[166:167], v[128:129], s[18:19], v[58:59]
	;; [unrolled: 1-line block ×3, first 2 shown]
	s_delay_alu instid0(VALU_DEP_3) | instskip(SKIP_1) | instid1(VALU_DEP_4)
	v_add_f64_e32 v[156:157], v[160:161], v[156:157]
	v_fma_f64 v[160:161], v[16:17], s[6:7], -v[204:205]
	v_add_f64_e32 v[38:39], v[166:167], v[38:39]
	s_delay_alu instid0(VALU_DEP_4) | instskip(SKIP_1) | instid1(VALU_DEP_4)
	v_add_f64_e32 v[66:67], v[70:71], v[66:67]
	v_mul_f64_e32 v[70:71], s[52:53], v[122:123]
	v_add_f64_e32 v[158:159], v[160:161], v[158:159]
	v_fma_f64 v[160:161], v[22:23], s[16:17], v[216:217]
	s_delay_alu instid0(VALU_DEP_4) | instskip(SKIP_2) | instid1(VALU_DEP_4)
	v_add_f64_e32 v[66:67], v[74:75], v[66:67]
	v_mul_f64_e32 v[74:75], s[34:35], v[126:127]
	v_mul_f64_e32 v[126:127], s[30:31], v[126:127]
	v_add_f64_e32 v[156:157], v[160:161], v[156:157]
	v_fma_f64 v[160:161], v[20:21], s[16:17], -v[218:219]
	v_add_f64_e32 v[66:67], v[78:79], v[66:67]
	v_mul_f64_e32 v[78:79], s[28:29], v[144:145]
	s_delay_alu instid0(VALU_DEP_3) | instskip(SKIP_1) | instid1(VALU_DEP_4)
	v_add_f64_e32 v[158:159], v[160:161], v[158:159]
	v_fma_f64 v[160:161], v[26:27], s[20:21], v[220:221]
	v_add_f64_e32 v[66:67], v[82:83], v[66:67]
	v_mul_f64_e32 v[82:83], s[42:43], v[134:135]
	s_delay_alu instid0(VALU_DEP_3) | instskip(SKIP_1) | instid1(VALU_DEP_4)
	v_add_f64_e32 v[156:157], v[160:161], v[156:157]
	v_fma_f64 v[160:161], v[24:25], s[20:21], -v[222:223]
	v_add_f64_e32 v[66:67], v[86:87], v[66:67]
	v_mul_f64_e32 v[86:87], s[38:39], v[142:143]
	s_delay_alu instid0(VALU_DEP_3) | instskip(SKIP_1) | instid1(VALU_DEP_1)
	v_add_f64_e32 v[158:159], v[160:161], v[158:159]
	v_fma_f64 v[160:161], v[132:133], s[4:5], v[224:225]
	v_add_f64_e32 v[156:157], v[160:161], v[156:157]
	v_fma_f64 v[160:161], v[128:129], s[4:5], -v[226:227]
	s_delay_alu instid0(VALU_DEP_1) | instskip(SKIP_1) | instid1(VALU_DEP_1)
	v_add_f64_e32 v[160:161], v[160:161], v[158:159]
	v_fma_f64 v[158:159], v[140:141], s[18:19], v[228:229]
	v_add_f64_e32 v[158:159], v[158:159], v[156:157]
	v_fma_f64 v[156:157], v[136:137], s[18:19], -v[230:231]
	s_delay_alu instid0(VALU_DEP_1) | instskip(SKIP_2) | instid1(VALU_DEP_2)
	v_add_f64_e32 v[156:157], v[156:157], v[160:161]
	v_fma_f64 v[160:161], v[110:111], s[20:21], -v[0:1]
	v_mul_f64_e32 v[0:1], s[48:49], v[148:149]
	v_add_f64_e32 v[160:161], v[160:161], v[168:169]
	scratch_store_b64 off, v[0:1], off offset:308 ; 8-byte Folded Spill
	v_fma_f64 v[162:163], v[108:109], s[20:21], v[0:1]
	v_mul_f64_e32 v[0:1], s[36:37], v[146:147]
	s_delay_alu instid0(VALU_DEP_2) | instskip(SKIP_4) | instid1(VALU_DEP_3)
	v_add_f64_e32 v[162:163], v[162:163], v[172:173]
	scratch_store_b64 off, v[0:1], off offset:316 ; 8-byte Folded Spill
	v_fma_f64 v[168:169], v[116:117], s[18:19], -v[0:1]
	v_mul_f64_e32 v[0:1], s[36:37], v[114:115]
	v_mul_f64_e32 v[114:115], s[34:35], v[114:115]
	v_add_f64_e32 v[160:161], v[168:169], v[160:161]
	scratch_store_b64 off, v[0:1], off offset:324 ; 8-byte Folded Spill
	v_fma_f64 v[168:169], v[112:113], s[18:19], v[0:1]
	v_mul_f64_e32 v[0:1], s[42:43], v[122:123]
	s_delay_alu instid0(VALU_DEP_2) | instskip(SKIP_3) | instid1(VALU_DEP_2)
	v_add_f64_e32 v[162:163], v[168:169], v[162:163]
	scratch_store_b64 off, v[0:1], off offset:332 ; 8-byte Folded Spill
	v_fma_f64 v[168:169], v[18:19], s[16:17], -v[0:1]
	v_mul_f64_e32 v[0:1], s[42:43], v[118:119]
	v_add_f64_e32 v[160:161], v[168:169], v[160:161]
	s_delay_alu instid0(VALU_DEP_2)
	v_fma_f64 v[168:169], v[16:17], s[16:17], v[0:1]
	scratch_store_b64 off, v[0:1], off offset:340 ; 8-byte Folded Spill
	v_mul_f64_e32 v[0:1], s[24:25], v[144:145]
	v_add_f64_e32 v[162:163], v[168:169], v[162:163]
	v_fma_f64 v[168:169], v[22:23], s[14:15], -v[240:241]
	scratch_store_b64 off, v[0:1], off offset:348 ; 8-byte Folded Spill
	v_add_f64_e32 v[160:161], v[168:169], v[160:161]
	v_fma_f64 v[168:169], v[20:21], s[14:15], v[200:201]
	s_delay_alu instid0(VALU_DEP_1) | instskip(SKIP_2) | instid1(VALU_DEP_2)
	v_add_f64_e32 v[162:163], v[168:169], v[162:163]
	v_fma_f64 v[168:169], v[26:27], s[10:11], -v[0:1]
	v_mul_f64_e32 v[0:1], s[38:39], v[134:135]
	v_add_f64_e32 v[160:161], v[168:169], v[160:161]
	v_fma_f64 v[168:169], v[24:25], s[10:11], v[184:185]
	scratch_store_b64 off, v[0:1], off offset:356 ; 8-byte Folded Spill
	v_add_f64_e32 v[162:163], v[168:169], v[162:163]
	v_fma_f64 v[168:169], v[132:133], s[6:7], -v[0:1]
	v_mul_f64_e32 v[0:1], s[38:39], v[144:145]
	v_mul_f64_e32 v[144:145], s[26:27], v[144:145]
	s_delay_alu instid0(VALU_DEP_3) | instskip(SKIP_1) | instid1(VALU_DEP_1)
	v_add_f64_e32 v[160:161], v[168:169], v[160:161]
	v_fma_f64 v[168:169], v[128:129], s[6:7], v[102:103]
	v_add_f64_e32 v[168:169], v[168:169], v[162:163]
	s_delay_alu instid0(VALU_DEP_3) | instskip(SKIP_1) | instid1(VALU_DEP_1)
	v_add_f64_e32 v[162:163], v[30:31], v[160:161]
	v_mul_f64_e32 v[30:31], s[30:31], v[138:139]
	v_fma_f64 v[160:161], v[136:137], s[4:5], v[30:31]
	s_delay_alu instid0(VALU_DEP_1) | instskip(SKIP_2) | instid1(VALU_DEP_1)
	v_add_f64_e32 v[160:161], v[160:161], v[168:169]
	v_add_f64_e32 v[168:169], v[62:63], v[34:35]
	v_mul_f64_e32 v[34:35], s[40:41], v[138:139]
	v_fma_f64 v[62:63], v[136:137], s[22:23], v[34:35]
	s_delay_alu instid0(VALU_DEP_1) | instskip(SKIP_1) | instid1(VALU_DEP_1)
	v_add_f64_e32 v[166:167], v[62:63], v[38:39]
	v_mul_f64_e32 v[38:39], s[24:25], v[150:151]
	v_fma_f64 v[62:63], v[110:111], s[10:11], -v[38:39]
	s_delay_alu instid0(VALU_DEP_1) | instskip(SKIP_1) | instid1(VALU_DEP_1)
	v_add_f64_e32 v[62:63], v[62:63], v[170:171]
	v_fma_f64 v[170:171], v[116:117], s[4:5], -v[198:199]
	v_add_f64_e32 v[62:63], v[170:171], v[62:63]
	v_fma_f64 v[170:171], v[18:19], s[14:15], -v[70:71]
	s_delay_alu instid0(VALU_DEP_1) | instskip(SKIP_1) | instid1(VALU_DEP_1)
	v_add_f64_e32 v[62:63], v[170:171], v[62:63]
	v_fma_f64 v[170:171], v[22:23], s[20:21], -v[74:75]
	v_add_f64_e32 v[62:63], v[170:171], v[62:63]
	v_fma_f64 v[170:171], v[26:27], s[22:23], -v[78:79]
	s_delay_alu instid0(VALU_DEP_1) | instskip(SKIP_1) | instid1(VALU_DEP_1)
	v_add_f64_e32 v[62:63], v[170:171], v[62:63]
	v_fma_f64 v[170:171], v[132:133], s[16:17], -v[82:83]
	v_add_f64_e32 v[62:63], v[170:171], v[62:63]
	v_fma_f64 v[170:171], v[140:141], s[6:7], -v[86:87]
	s_delay_alu instid0(VALU_DEP_1) | instskip(SKIP_1) | instid1(VALU_DEP_1)
	v_add_f64_e32 v[172:173], v[170:171], v[62:63]
	v_mul_f64_e32 v[62:63], s[38:39], v[138:139]
	v_fma_f64 v[170:171], v[136:137], s[6:7], v[62:63]
	s_delay_alu instid0(VALU_DEP_1) | instskip(SKIP_1) | instid1(VALU_DEP_1)
	v_add_f64_e32 v[170:171], v[170:171], v[66:67]
	v_mul_f64_e32 v[66:67], s[30:31], v[150:151]
	v_fma_f64 v[174:175], v[110:111], s[4:5], -v[66:67]
	s_delay_alu instid0(VALU_DEP_1) | instskip(SKIP_1) | instid1(VALU_DEP_1)
	v_add_f64_e32 v[174:175], v[174:175], v[214:215]
	v_mul_f64_e32 v[214:215], s[30:31], v[148:149]
	v_fma_f64 v[176:177], v[108:109], s[4:5], v[214:215]
	s_delay_alu instid0(VALU_DEP_1) | instskip(SKIP_2) | instid1(VALU_DEP_3)
	v_add_f64_e32 v[176:177], v[176:177], v[182:183]
	v_mul_f64_e32 v[182:183], s[52:53], v[146:147]
	v_mul_f64_e32 v[146:147], s[34:35], v[146:147]
	v_add_f64_e32 v[90:91], v[90:91], v[176:177]
	s_delay_alu instid0(VALU_DEP_3) | instskip(NEXT) | instid1(VALU_DEP_1)
	v_fma_f64 v[100:101], v[116:117], s[14:15], -v[182:183]
	v_add_f64_e32 v[100:101], v[100:101], v[174:175]
	s_delay_alu instid0(VALU_DEP_1) | instskip(SKIP_1) | instid1(VALU_DEP_2)
	v_add_f64_e32 v[94:95], v[94:95], v[100:101]
	v_mul_f64_e32 v[100:101], s[40:41], v[118:119]
	v_add_f64_e32 v[94:95], v[98:99], v[94:95]
	s_delay_alu instid0(VALU_DEP_2) | instskip(SKIP_1) | instid1(VALU_DEP_2)
	v_fma_f64 v[174:175], v[16:17], s[22:23], v[100:101]
	v_mul_f64_e32 v[98:99], s[36:37], v[120:121]
	v_add_f64_e32 v[90:91], v[174:175], v[90:91]
	s_delay_alu instid0(VALU_DEP_2) | instskip(NEXT) | instid1(VALU_DEP_1)
	v_fma_f64 v[174:175], v[20:21], s[18:19], v[98:99]
	v_add_f64_e32 v[90:91], v[174:175], v[90:91]
	v_fma_f64 v[174:175], v[26:27], s[6:7], -v[0:1]
	v_fma_f64 v[0:1], v[26:27], s[6:7], v[0:1]
	s_delay_alu instid0(VALU_DEP_3) | instskip(SKIP_1) | instid1(VALU_DEP_4)
	v_add_f64_e32 v[6:7], v[6:7], v[90:91]
	v_mul_f64_e32 v[90:91], s[50:51], v[134:135]
	v_add_f64_e32 v[94:95], v[174:175], v[94:95]
	s_delay_alu instid0(VALU_DEP_2) | instskip(NEXT) | instid1(VALU_DEP_1)
	v_fma_f64 v[174:175], v[132:133], s[10:11], -v[90:91]
	v_add_f64_e32 v[94:95], v[174:175], v[94:95]
	v_fma_f64 v[174:175], v[128:129], s[10:11], v[164:165]
	s_delay_alu instid0(VALU_DEP_2) | instskip(SKIP_1) | instid1(VALU_DEP_3)
	v_add_f64_e32 v[176:177], v[10:11], v[94:95]
	v_mul_f64_e32 v[10:11], s[34:35], v[138:139]
	v_add_f64_e32 v[6:7], v[174:175], v[6:7]
	v_mul_f64_e32 v[138:139], s[24:25], v[138:139]
	s_delay_alu instid0(VALU_DEP_3) | instskip(NEXT) | instid1(VALU_DEP_1)
	v_fma_f64 v[94:95], v[136:137], s[20:21], v[10:11]
	v_add_f64_e32 v[174:175], v[94:95], v[6:7]
	v_mul_f64_e32 v[6:7], s[46:47], v[150:151]
	v_fma_f64 v[150:151], v[116:117], s[20:21], -v[146:147]
	s_delay_alu instid0(VALU_DEP_2) | instskip(SKIP_1) | instid1(VALU_DEP_2)
	v_fma_f64 v[94:95], v[110:111], s[6:7], -v[6:7]
	v_fma_f64 v[6:7], v[110:111], s[6:7], v[6:7]
	v_add_f64_e32 v[94:95], v[94:95], v[104:105]
	v_mul_f64_e32 v[104:105], s[46:47], v[148:149]
	s_delay_alu instid0(VALU_DEP_2) | instskip(NEXT) | instid1(VALU_DEP_2)
	v_add_f64_e32 v[94:95], v[150:151], v[94:95]
	v_fma_f64 v[148:149], v[108:109], s[6:7], v[104:105]
	v_fma_f64 v[150:151], v[112:113], s[20:21], v[114:115]
	s_delay_alu instid0(VALU_DEP_2) | instskip(SKIP_1) | instid1(VALU_DEP_2)
	v_add_f64_e32 v[148:149], v[148:149], v[180:181]
	v_mul_f64_e32 v[180:181], s[36:37], v[118:119]
	v_add_f64_e32 v[148:149], v[150:151], v[148:149]
	v_mul_f64_e32 v[150:151], s[36:37], v[122:123]
	s_delay_alu instid0(VALU_DEP_3) | instskip(NEXT) | instid1(VALU_DEP_2)
	v_fma_f64 v[118:119], v[16:17], s[18:19], v[180:181]
	v_fma_f64 v[122:123], v[18:19], s[18:19], -v[150:151]
	s_delay_alu instid0(VALU_DEP_2) | instskip(SKIP_1) | instid1(VALU_DEP_3)
	v_add_f64_e32 v[118:119], v[118:119], v[148:149]
	v_mul_f64_e32 v[148:149], s[30:31], v[120:121]
	v_add_f64_e32 v[94:95], v[122:123], v[94:95]
	v_fma_f64 v[122:123], v[22:23], s[4:5], -v[126:127]
	s_delay_alu instid0(VALU_DEP_3) | instskip(NEXT) | instid1(VALU_DEP_2)
	v_fma_f64 v[120:121], v[20:21], s[4:5], v[148:149]
	v_add_f64_e32 v[94:95], v[122:123], v[94:95]
	v_mul_f64_e32 v[122:123], s[26:27], v[124:125]
	v_mul_f64_e32 v[124:125], s[28:29], v[134:135]
	;; [unrolled: 1-line block ×3, first 2 shown]
	scratch_load_b64 v[142:143], off, off offset:292 th:TH_LOAD_LU ; 8-byte Folded Reload
	v_add_f64_e32 v[118:119], v[120:121], v[118:119]
	v_fma_f64 v[120:121], v[26:27], s[16:17], -v[144:145]
	s_delay_alu instid0(VALU_DEP_1) | instskip(SKIP_1) | instid1(VALU_DEP_1)
	v_add_f64_e32 v[94:95], v[120:121], v[94:95]
	v_fma_f64 v[120:121], v[24:25], s[16:17], v[122:123]
	v_add_f64_e32 v[118:119], v[120:121], v[118:119]
	v_fma_f64 v[120:121], v[132:133], s[22:23], -v[124:125]
	s_delay_alu instid0(VALU_DEP_1) | instskip(SKIP_1) | instid1(VALU_DEP_1)
	v_add_f64_e32 v[94:95], v[120:121], v[94:95]
	v_fma_f64 v[120:121], v[128:129], s[22:23], v[130:131]
	v_add_f64_e32 v[118:119], v[120:121], v[118:119]
	v_fma_f64 v[120:121], v[140:141], s[10:11], -v[134:135]
	s_delay_alu instid0(VALU_DEP_1) | instskip(SKIP_1) | instid1(VALU_DEP_1)
	v_add_f64_e32 v[120:121], v[120:121], v[94:95]
	v_fma_f64 v[94:95], v[136:137], s[10:11], v[138:139]
	v_add_f64_e32 v[118:119], v[94:95], v[118:119]
	v_fma_f64 v[94:95], v[110:111], s[14:15], -v[186:187]
	v_fma_f64 v[186:187], v[136:137], s[18:19], v[230:231]
	s_wait_loadcnt 0x0
	s_delay_alu instid0(VALU_DEP_2) | instskip(SKIP_1) | instid1(VALU_DEP_1)
	v_add_f64_e32 v[94:95], v[94:95], v[142:143]
	v_fma_f64 v[142:143], v[108:109], s[14:15], v[188:189]
	v_add_f64_e32 v[142:143], v[142:143], v[178:179]
	v_fma_f64 v[178:179], v[116:117], s[22:23], -v[190:191]
	s_delay_alu instid0(VALU_DEP_1) | instskip(SKIP_1) | instid1(VALU_DEP_1)
	v_add_f64_e32 v[94:95], v[178:179], v[94:95]
	v_fma_f64 v[178:179], v[112:113], s[22:23], v[192:193]
	v_add_f64_e32 v[142:143], v[178:179], v[142:143]
	v_fma_f64 v[178:179], v[18:19], s[6:7], -v[202:203]
	s_delay_alu instid0(VALU_DEP_1) | instskip(SKIP_1) | instid1(VALU_DEP_1)
	;; [unrolled: 5-line block ×4, first 2 shown]
	v_add_f64_e32 v[94:95], v[178:179], v[94:95]
	v_fma_f64 v[178:179], v[24:25], s[20:21], v[222:223]
	v_add_f64_e32 v[142:143], v[178:179], v[142:143]
	v_fma_f64 v[178:179], v[132:133], s[4:5], -v[224:225]
	v_dual_mov_b32 v225, v213 :: v_dual_mov_b32 v222, v210
	v_dual_mov_b32 v224, v212 :: v_dual_mov_b32 v223, v211
	s_delay_alu instid0(VALU_DEP_3) | instskip(SKIP_1) | instid1(VALU_DEP_1)
	v_add_f64_e32 v[94:95], v[178:179], v[94:95]
	v_fma_f64 v[178:179], v[128:129], s[4:5], v[226:227]
	v_add_f64_e32 v[142:143], v[178:179], v[142:143]
	v_fma_f64 v[178:179], v[140:141], s[18:19], -v[228:229]
	v_dual_mov_b32 v229, v209 :: v_dual_mov_b32 v226, v206
	v_dual_mov_b32 v228, v208 :: v_dual_mov_b32 v227, v207
	s_delay_alu instid0(VALU_DEP_4) | instskip(NEXT) | instid1(VALU_DEP_4)
	v_add_f64_e32 v[186:187], v[186:187], v[142:143]
	v_add_f64_e32 v[188:189], v[178:179], v[94:95]
	scratch_load_b64 v[94:95], off, off offset:284 th:TH_LOAD_LU ; 8-byte Folded Reload
	s_wait_loadcnt 0x0
	v_add_f64_e32 v[6:7], v[6:7], v[94:95]
	v_fma_f64 v[94:95], v[108:109], s[6:7], -v[104:105]
	scratch_load_b64 v[104:105], off, off offset:276 th:TH_LOAD_LU ; 8-byte Folded Reload
	s_wait_loadcnt 0x0
	v_add_f64_e32 v[94:95], v[94:95], v[104:105]
	v_fma_f64 v[104:105], v[116:117], s[20:21], v[146:147]
	s_delay_alu instid0(VALU_DEP_1) | instskip(SKIP_2) | instid1(VALU_DEP_2)
	v_add_f64_e32 v[6:7], v[104:105], v[6:7]
	v_fma_f64 v[104:105], v[112:113], s[20:21], -v[114:115]
	v_fma_f64 v[114:115], v[136:137], s[10:11], -v[138:139]
	v_add_f64_e32 v[94:95], v[104:105], v[94:95]
	v_fma_f64 v[104:105], v[18:19], s[18:19], v[150:151]
	s_delay_alu instid0(VALU_DEP_1) | instskip(SKIP_1) | instid1(VALU_DEP_1)
	v_add_f64_e32 v[6:7], v[104:105], v[6:7]
	v_fma_f64 v[104:105], v[16:17], s[18:19], -v[180:181]
	v_add_f64_e32 v[94:95], v[104:105], v[94:95]
	v_fma_f64 v[104:105], v[22:23], s[4:5], v[126:127]
	s_delay_alu instid0(VALU_DEP_1) | instskip(SKIP_1) | instid1(VALU_DEP_1)
	v_add_f64_e32 v[6:7], v[104:105], v[6:7]
	;; [unrolled: 5-line block ×4, first 2 shown]
	v_fma_f64 v[104:105], v[128:129], s[22:23], -v[130:131]
	v_add_f64_e32 v[94:95], v[104:105], v[94:95]
	v_fma_f64 v[104:105], v[140:141], s[10:11], v[134:135]
	s_delay_alu instid0(VALU_DEP_2) | instskip(NEXT) | instid1(VALU_DEP_2)
	v_add_f64_e32 v[142:143], v[114:115], v[94:95]
	v_add_f64_e32 v[144:145], v[104:105], v[6:7]
	v_fma_f64 v[6:7], v[110:111], s[4:5], v[66:67]
	v_fma_f64 v[66:67], v[116:117], s[14:15], v[182:183]
	s_delay_alu instid0(VALU_DEP_2) | instskip(NEXT) | instid1(VALU_DEP_1)
	v_add_f64_e32 v[6:7], v[6:7], v[106:107]
	v_add_f64_e32 v[6:7], v[66:67], v[6:7]
	v_fma_f64 v[66:67], v[18:19], s[22:23], v[92:93]
	s_delay_alu instid0(VALU_DEP_1) | instskip(SKIP_1) | instid1(VALU_DEP_1)
	v_add_f64_e32 v[6:7], v[66:67], v[6:7]
	v_fma_f64 v[66:67], v[22:23], s[18:19], v[96:97]
	v_add_f64_e32 v[6:7], v[66:67], v[6:7]
	scratch_load_b64 v[66:67], off, off offset:252 th:TH_LOAD_LU ; 8-byte Folded Reload
	v_add_f64_e32 v[0:1], v[0:1], v[6:7]
	v_fma_f64 v[6:7], v[108:109], s[4:5], -v[214:215]
	s_wait_loadcnt 0x0
	s_delay_alu instid0(VALU_DEP_1) | instskip(SKIP_1) | instid1(VALU_DEP_1)
	v_add_f64_e32 v[6:7], v[6:7], v[66:67]
	v_fma_f64 v[66:67], v[112:113], s[14:15], -v[88:89]
	v_add_f64_e32 v[6:7], v[66:67], v[6:7]
	v_fma_f64 v[66:67], v[16:17], s[22:23], -v[100:101]
	s_delay_alu instid0(VALU_DEP_1) | instskip(SKIP_3) | instid1(VALU_DEP_3)
	v_add_f64_e32 v[6:7], v[66:67], v[6:7]
	v_fma_f64 v[66:67], v[20:21], s[18:19], -v[98:99]
	v_dual_mov_b32 v96, v236 :: v_dual_mov_b32 v99, v239
	v_dual_mov_b32 v97, v237 :: v_dual_mov_b32 v98, v238
	v_add_f64_e32 v[6:7], v[66:67], v[6:7]
	s_delay_alu instid0(VALU_DEP_1) | instskip(SKIP_1) | instid1(VALU_DEP_1)
	v_add_f64_e32 v[4:5], v[4:5], v[6:7]
	v_fma_f64 v[6:7], v[132:133], s[10:11], v[90:91]
	v_add_f64_e32 v[0:1], v[6:7], v[0:1]
	v_fma_f64 v[6:7], v[128:129], s[10:11], -v[164:165]
	v_mov_b32_e32 v164, v8
	scratch_load_b64 v[8:9], off, off offset:188 th:TH_LOAD_LU ; 8-byte Folded Reload
	v_add_f64_e32 v[148:149], v[2:3], v[0:1]
	v_add_f64_e32 v[4:5], v[6:7], v[4:5]
	v_fma_f64 v[6:7], v[136:137], s[20:21], -v[10:11]
	scratch_load_b64 v[2:3], off, off offset:244 th:TH_LOAD_LU ; 8-byte Folded Reload
	v_fma_f64 v[0:1], v[110:111], s[10:11], v[38:39]
	v_add_f64_e32 v[146:147], v[6:7], v[4:5]
	scratch_load_b64 v[4:5], off, off offset:236 th:TH_LOAD_LU ; 8-byte Folded Reload
	v_fma_f64 v[6:7], v[136:137], s[6:7], -v[62:63]
	s_wait_loadcnt 0x1
	v_add_f64_e32 v[0:1], v[0:1], v[2:3]
	v_fma_f64 v[2:3], v[108:109], s[10:11], -v[64:65]
	v_dual_mov_b32 v67, v15 :: v_dual_mov_b32 v66, v14
	v_dual_mov_b32 v64, v12 :: v_dual_mov_b32 v65, v13
	s_wait_loadcnt 0x0
	s_delay_alu instid0(VALU_DEP_3) | instskip(SKIP_1) | instid1(VALU_DEP_1)
	v_add_f64_e32 v[2:3], v[2:3], v[4:5]
	v_fma_f64 v[4:5], v[116:117], s[4:5], v[198:199]
	v_add_f64_e32 v[0:1], v[4:5], v[0:1]
	v_fma_f64 v[4:5], v[112:113], s[4:5], -v[68:69]
	s_delay_alu instid0(VALU_DEP_1) | instskip(SKIP_1) | instid1(VALU_DEP_1)
	v_add_f64_e32 v[2:3], v[4:5], v[2:3]
	v_fma_f64 v[4:5], v[18:19], s[14:15], v[70:71]
	v_add_f64_e32 v[0:1], v[4:5], v[0:1]
	v_fma_f64 v[4:5], v[16:17], s[14:15], -v[72:73]
	s_delay_alu instid0(VALU_DEP_1) | instskip(SKIP_1) | instid1(VALU_DEP_1)
	;; [unrolled: 5-line block ×4, first 2 shown]
	v_add_f64_e32 v[2:3], v[4:5], v[2:3]
	v_fma_f64 v[4:5], v[132:133], s[16:17], v[82:83]
	v_add_f64_e32 v[0:1], v[4:5], v[0:1]
	v_fma_f64 v[4:5], v[128:129], s[16:17], -v[84:85]
	s_delay_alu instid0(VALU_DEP_1) | instskip(SKIP_1) | instid1(VALU_DEP_2)
	v_add_f64_e32 v[2:3], v[4:5], v[2:3]
	v_fma_f64 v[4:5], v[140:141], s[6:7], v[86:87]
	v_add_f64_e32 v[178:179], v[6:7], v[2:3]
	scratch_load_b64 v[2:3], off, off offset:212 th:TH_LOAD_LU ; 8-byte Folded Reload
	v_add_f64_e32 v[180:181], v[4:5], v[0:1]
	scratch_load_b64 v[4:5], off, off offset:204 th:TH_LOAD_LU ; 8-byte Folded Reload
	v_fma_f64 v[0:1], v[110:111], s[16:17], v[32:33]
	v_fma_f64 v[6:7], v[136:137], s[22:23], -v[34:35]
	s_wait_loadcnt 0x1
	s_delay_alu instid0(VALU_DEP_2) | instskip(SKIP_2) | instid1(VALU_DEP_1)
	v_add_f64_e32 v[0:1], v[0:1], v[2:3]
	v_fma_f64 v[2:3], v[108:109], s[16:17], -v[36:37]
	s_wait_loadcnt 0x0
	v_add_f64_e32 v[2:3], v[2:3], v[4:5]
	v_fma_f64 v[4:5], v[116:117], s[10:11], v[40:41]
	s_delay_alu instid0(VALU_DEP_1) | instskip(SKIP_1) | instid1(VALU_DEP_1)
	v_add_f64_e32 v[0:1], v[4:5], v[0:1]
	v_fma_f64 v[4:5], v[112:113], s[10:11], -v[42:43]
	v_add_f64_e32 v[2:3], v[4:5], v[2:3]
	v_fma_f64 v[4:5], v[18:19], s[4:5], v[44:45]
	s_delay_alu instid0(VALU_DEP_1) | instskip(SKIP_1) | instid1(VALU_DEP_1)
	v_add_f64_e32 v[0:1], v[4:5], v[0:1]
	v_fma_f64 v[4:5], v[16:17], s[4:5], -v[46:47]
	;; [unrolled: 5-line block ×4, first 2 shown]
	v_add_f64_e32 v[2:3], v[4:5], v[2:3]
	v_fma_f64 v[4:5], v[132:133], s[18:19], v[56:57]
	s_delay_alu instid0(VALU_DEP_1)
	v_add_f64_e32 v[0:1], v[4:5], v[0:1]
	v_fma_f64 v[4:5], v[128:129], s[18:19], -v[58:59]
	v_dual_mov_b32 v56, v232 :: v_dual_mov_b32 v57, v233
	v_dual_mov_b32 v58, v234 :: v_dual_mov_b32 v59, v235
	v_mov_b32_e32 v233, v197
	v_dual_mov_b32 v231, v195 :: v_dual_mov_b32 v232, v196
	v_dual_mov_b32 v237, v155 :: v_dual_mov_b32 v230, v194
	;; [unrolled: 1-line block ×3, first 2 shown]
	v_mov_b32_e32 v234, v152
	v_add_f64_e32 v[2:3], v[4:5], v[2:3]
	v_fma_f64 v[4:5], v[140:141], s[22:23], v[60:61]
	s_delay_alu instid0(VALU_DEP_2) | instskip(NEXT) | instid1(VALU_DEP_2)
	v_add_f64_e32 v[104:105], v[6:7], v[2:3]
	v_add_f64_e32 v[106:107], v[4:5], v[0:1]
	s_clause 0x3
	scratch_load_b64 v[0:1], off, off offset:300 th:TH_LOAD_LU
	scratch_load_b64 v[2:3], off, off offset:308 th:TH_LOAD_LU
	scratch_load_b64 v[4:5], off, off offset:316 th:TH_LOAD_LU
	scratch_load_b64 v[6:7], off, off offset:196 th:TH_LOAD_LU
	s_wait_loadcnt 0x3
	v_fma_f64 v[0:1], v[110:111], s[20:21], v[0:1]
	s_wait_loadcnt 0x2
	v_fma_f64 v[2:3], v[108:109], s[20:21], -v[2:3]
	s_wait_loadcnt 0x0
	s_delay_alu instid0(VALU_DEP_2) | instskip(SKIP_4) | instid1(VALU_DEP_1)
	v_add_f64_e32 v[0:1], v[0:1], v[6:7]
	scratch_load_b64 v[6:7], off, off offset:324 th:TH_LOAD_LU ; 8-byte Folded Reload
	v_add_f64_e32 v[2:3], v[2:3], v[8:9]
	scratch_load_b64 v[8:9], off, off offset:332 th:TH_LOAD_LU ; 8-byte Folded Reload
	v_fma_f64 v[4:5], v[116:117], s[18:19], v[4:5]
	v_add_f64_e32 v[0:1], v[4:5], v[0:1]
	scratch_load_b64 v[4:5], off, off offset:340 th:TH_LOAD_LU ; 8-byte Folded Reload
	s_wait_loadcnt 0x2
	v_fma_f64 v[6:7], v[112:113], s[18:19], -v[6:7]
	s_wait_loadcnt 0x1
	v_fma_f64 v[10:11], v[18:19], s[16:17], v[8:9]
	scratch_load_b64 v[8:9], off, off offset:356 th:TH_LOAD_LU ; 8-byte Folded Reload
	v_add_f64_e32 v[2:3], v[6:7], v[2:3]
	v_fma_f64 v[6:7], v[22:23], s[14:15], v[240:241]
	v_add_f64_e32 v[0:1], v[10:11], v[0:1]
	v_fma_f64 v[10:11], v[20:21], s[14:15], -v[200:201]
	s_wait_loadcnt 0x1
	v_fma_f64 v[4:5], v[16:17], s[16:17], -v[4:5]
	s_delay_alu instid0(VALU_DEP_3) | instskip(SKIP_1) | instid1(VALU_DEP_3)
	v_add_f64_e32 v[0:1], v[6:7], v[0:1]
	v_fma_f64 v[6:7], v[24:25], s[10:11], -v[184:185]
	v_add_f64_e32 v[2:3], v[4:5], v[2:3]
	scratch_load_b64 v[4:5], off, off offset:348 th:TH_LOAD_LU ; 8-byte Folded Reload
	v_add_f64_e32 v[2:3], v[10:11], v[2:3]
	s_delay_alu instid0(VALU_DEP_1)
	v_add_f64_e32 v[2:3], v[6:7], v[2:3]
	v_fma_f64 v[6:7], v[140:141], s[4:5], v[28:29]
	s_wait_loadcnt 0x1
	v_fma_f64 v[10:11], v[132:133], s[6:7], v[8:9]
	v_fma_f64 v[8:9], v[136:137], s[4:5], -v[30:31]
	s_wait_loadcnt 0x0
	v_fma_f64 v[4:5], v[26:27], s[10:11], v[4:5]
	s_delay_alu instid0(VALU_DEP_1) | instskip(SKIP_1) | instid1(VALU_DEP_2)
	v_add_f64_e32 v[0:1], v[4:5], v[0:1]
	v_fma_f64 v[4:5], v[128:129], s[6:7], -v[102:103]
	v_add_f64_e32 v[0:1], v[10:11], v[0:1]
	s_delay_alu instid0(VALU_DEP_2) | instskip(NEXT) | instid1(VALU_DEP_2)
	v_add_f64_e32 v[2:3], v[4:5], v[2:3]
	v_add_f64_e32 v[18:19], v[6:7], v[0:1]
	scratch_load_b32 v0, off, off offset:120 th:TH_LOAD_LU ; 4-byte Folded Reload
	v_add_f64_e32 v[16:17], v[8:9], v[2:3]
	scratch_load_b128 v[1:4], off, off offset:140 th:TH_LOAD_LU ; 16-byte Folded Reload
	s_wait_loadcnt 0x1
	v_and_b32_e32 v0, 0xffff, v0
	s_delay_alu instid0(VALU_DEP_1)
	v_lshlrev_b32_e32 v0, 4, v0
	s_wait_loadcnt 0x0
	ds_store_b128 v0, v[1:4]
	ds_store_b128 v0, v[160:163] offset:16
	ds_store_b128 v0, v[166:169] offset:32
	;; [unrolled: 1-line block ×6, first 2 shown]
	scratch_load_b128 v[1:4], off, off offset:260 th:TH_LOAD_LU ; 16-byte Folded Reload
	s_wait_loadcnt 0x0
	ds_store_b128 v0, v[1:4] offset:112
	s_clause 0x1
	scratch_load_b128 v[238:241], off, off offset:124
	scratch_load_b128 v[1:4], off, off offset:172 th:TH_LOAD_LU
	s_wait_loadcnt 0x0
	ds_store_b128 v0, v[1:4] offset:128
	scratch_load_b128 v[1:4], off, off offset:156 th:TH_LOAD_LU ; 16-byte Folded Reload
	s_wait_loadcnt 0x0
	ds_store_b128 v0, v[1:4] offset:144
	scratch_load_b128 v[1:4], off, off offset:220 th:TH_LOAD_LU ; 16-byte Folded Reload
	s_wait_loadcnt 0x0
	ds_store_b128 v0, v[1:4] offset:160
	ds_store_b128 v0, v[156:159] offset:176
	ds_store_b128 v0, v[142:145] offset:192
	ds_store_b128 v0, v[146:149] offset:208
	ds_store_b128 v0, v[178:181] offset:224
	ds_store_b128 v0, v[104:107] offset:240
	ds_store_b128 v0, v[16:19] offset:256
.LBB0_13:
	s_or_b32 exec_lo, exec_lo, s33
	global_wb scope:SCOPE_SE
	s_wait_storecnt_dscnt 0x0
	s_barrier_signal -1
	s_barrier_wait -1
	global_inv scope:SCOPE_SE
	ds_load_b128 v[0:3], v255 offset:8160
	ds_load_b128 v[4:7], v255 offset:13600
	;; [unrolled: 1-line block ×6, first 2 shown]
	s_mov_b32 s10, 0x134454ff
	s_mov_b32 s11, 0xbfee6f0e
	;; [unrolled: 1-line block ×3, first 2 shown]
	s_wait_alu 0xfffe
	s_mov_b32 s4, s10
	s_mov_b32 s16, 0x4755a5e
	;; [unrolled: 1-line block ×4, first 2 shown]
	s_wait_alu 0xfffe
	s_mov_b32 s6, s16
	s_mov_b32 s14, 0x372fe950
	;; [unrolled: 1-line block ×6, first 2 shown]
	s_wait_alu 0xfffe
	s_mov_b32 s20, s14
	s_mov_b32 s23, 0xbfe9e377
	s_wait_dscnt 0x5
	v_mul_f64_e32 v[24:25], v[236:237], v[0:1]
	s_wait_dscnt 0x4
	v_mul_f64_e32 v[26:27], v[244:245], v[4:5]
	;; [unrolled: 2-line block ×5, first 2 shown]
	v_mul_f64_e32 v[34:35], v[236:237], v[2:3]
	v_mul_f64_e32 v[36:37], v[244:245], v[6:7]
	;; [unrolled: 1-line block ×5, first 2 shown]
	s_mov_b32 s22, s18
	v_fma_f64 v[42:43], v[234:235], v[2:3], -v[24:25]
	v_fma_f64 v[6:7], v[242:243], v[6:7], -v[26:27]
	;; [unrolled: 1-line block ×4, first 2 shown]
	ds_load_b128 v[24:27], v255 offset:10880
	ds_load_b128 v[100:103], v255 offset:16320
	;; [unrolled: 1-line block ×3, first 2 shown]
	s_wait_dscnt 0x3
	v_mul_f64_e32 v[2:3], v[232:233], v[22:23]
	v_mul_f64_e32 v[28:29], v[232:233], v[20:21]
	v_fma_f64 v[34:35], v[234:235], v[0:1], v[34:35]
	v_fma_f64 v[4:5], v[242:243], v[4:5], v[36:37]
	;; [unrolled: 1-line block ×4, first 2 shown]
	v_fma_f64 v[18:19], v[56:57], v[18:19], -v[32:33]
	v_fma_f64 v[16:17], v[56:57], v[16:17], v[54:55]
	s_wait_dscnt 0x2
	v_mul_f64_e32 v[30:31], v[228:229], v[26:27]
	v_mul_f64_e32 v[44:45], v[228:229], v[24:25]
	s_wait_dscnt 0x1
	v_mul_f64_e32 v[46:47], v[224:225], v[102:103]
	s_wait_dscnt 0x0
	v_mul_f64_e32 v[48:49], v[66:67], v[106:107]
	v_mul_f64_e32 v[50:51], v[224:225], v[100:101]
	;; [unrolled: 1-line block ×3, first 2 shown]
	v_add_f64_e64 v[62:63], v[42:43], -v[6:7]
	v_add_f64_e32 v[0:1], v[6:7], v[10:11]
	v_add_f64_e32 v[32:33], v[42:43], v[14:15]
	v_add_f64_e64 v[60:61], v[42:43], -v[14:15]
	v_fma_f64 v[20:21], v[230:231], v[20:21], v[2:3]
	v_fma_f64 v[22:23], v[230:231], v[22:23], -v[28:29]
	v_add_f64_e64 v[66:67], v[6:7], -v[42:43]
	v_add_f64_e64 v[68:69], v[10:11], -v[14:15]
	v_add_f64_e32 v[40:41], v[4:5], v[8:9]
	v_add_f64_e64 v[70:71], v[6:7], -v[10:11]
	v_add_f64_e64 v[84:85], v[34:35], -v[4:5]
	;; [unrolled: 1-line block ×4, first 2 shown]
	v_fma_f64 v[24:25], v[226:227], v[24:25], v[30:31]
	v_fma_f64 v[26:27], v[226:227], v[26:27], -v[44:45]
	v_fma_f64 v[28:29], v[222:223], v[100:101], v[46:47]
	v_fma_f64 v[30:31], v[64:65], v[104:105], v[48:49]
	v_fma_f64 v[36:37], v[222:223], v[102:103], -v[50:51]
	v_fma_f64 v[38:39], v[64:65], v[106:107], -v[52:53]
	v_add_f64_e32 v[44:45], v[34:35], v[12:13]
	v_add_f64_e64 v[46:47], v[34:35], -v[12:13]
	v_add_f64_e64 v[48:49], v[4:5], -v[8:9]
	;; [unrolled: 1-line block ×3, first 2 shown]
	v_fma_f64 v[50:51], v[0:1], -0.5, v[18:19]
	v_fma_f64 v[32:33], v[32:33], -0.5, v[18:19]
	ds_load_b128 v[0:3], v255
	v_add_f64_e32 v[18:19], v[18:19], v[42:43]
	global_wb scope:SCOPE_SE
	s_wait_dscnt 0x0
	s_barrier_signal -1
	s_barrier_wait -1
	v_fma_f64 v[40:41], v[40:41], -0.5, v[16:17]
	global_inv scope:SCOPE_SE
	v_add_f64_e64 v[90:91], v[22:23], -v[26:27]
	v_add_f64_e32 v[52:53], v[24:25], v[28:29]
	v_add_f64_e32 v[54:55], v[20:21], v[30:31]
	;; [unrolled: 1-line block ×4, first 2 shown]
	v_fma_f64 v[44:45], v[44:45], -0.5, v[16:17]
	v_add_f64_e32 v[76:77], v[0:1], v[20:21]
	v_add_f64_e32 v[82:83], v[2:3], v[22:23]
	;; [unrolled: 1-line block ×3, first 2 shown]
	v_add_f64_e64 v[78:79], v[22:23], -v[38:39]
	v_add_f64_e64 v[34:35], v[4:5], -v[34:35]
	;; [unrolled: 1-line block ×6, first 2 shown]
	v_fma_f64 v[72:73], v[46:47], s[4:5], v[50:51]
	v_fma_f64 v[74:75], v[48:49], s[10:11], v[32:33]
	;; [unrolled: 1-line block ×4, first 2 shown]
	v_add_f64_e32 v[6:7], v[18:19], v[6:7]
	v_fma_f64 v[42:43], v[52:53], -0.5, v[0:1]
	v_add_f64_e64 v[52:53], v[20:21], -v[30:31]
	v_fma_f64 v[0:1], v[54:55], -0.5, v[0:1]
	v_add_f64_e64 v[54:55], v[24:25], -v[28:29]
	v_fma_f64 v[56:57], v[56:57], -0.5, v[2:3]
	v_fma_f64 v[2:3], v[58:59], -0.5, v[2:3]
	v_add_f64_e32 v[58:59], v[62:63], v[64:65]
	v_add_f64_e32 v[62:63], v[66:67], v[68:69]
	v_fma_f64 v[64:65], v[60:61], s[10:11], v[40:41]
	v_fma_f64 v[40:41], v[60:61], s[4:5], v[40:41]
	;; [unrolled: 1-line block ×4, first 2 shown]
	v_add_f64_e32 v[26:27], v[82:83], v[26:27]
	v_add_f64_e32 v[4:5], v[16:17], v[4:5]
	;; [unrolled: 1-line block ×4, first 2 shown]
	v_fma_f64 v[68:69], v[48:49], s[6:7], v[72:73]
	v_fma_f64 v[72:73], v[46:47], s[6:7], v[74:75]
	;; [unrolled: 1-line block ×4, first 2 shown]
	v_add_f64_e64 v[48:49], v[20:21], -v[24:25]
	v_add_f64_e64 v[20:21], v[24:25], -v[20:21]
	v_add_f64_e32 v[24:25], v[76:77], v[24:25]
	v_add_f64_e64 v[50:51], v[30:31], -v[28:29]
	v_add_f64_e64 v[74:75], v[28:29], -v[30:31]
	v_add_f64_e32 v[6:7], v[6:7], v[10:11]
	v_add_f64_e32 v[22:23], v[22:23], v[94:95]
	v_fma_f64 v[18:19], v[78:79], s[10:11], v[42:43]
	v_fma_f64 v[42:43], v[78:79], s[4:5], v[42:43]
	;; [unrolled: 1-line block ×12, first 2 shown]
	v_add_f64_e32 v[26:27], v[26:27], v[36:37]
	v_add_f64_e32 v[4:5], v[4:5], v[8:9]
	v_fma_f64 v[60:61], v[58:59], s[14:15], v[68:69]
	v_fma_f64 v[68:69], v[62:63], s[14:15], v[72:73]
	;; [unrolled: 1-line block ×4, first 2 shown]
	v_add_f64_e32 v[24:25], v[24:25], v[28:29]
	v_add_f64_e32 v[48:49], v[48:49], v[50:51]
	;; [unrolled: 1-line block ×5, first 2 shown]
	v_fma_f64 v[8:9], v[80:81], s[16:17], v[18:19]
	v_fma_f64 v[10:11], v[80:81], s[6:7], v[42:43]
	;; [unrolled: 1-line block ×12, first 2 shown]
	v_add_f64_e32 v[26:27], v[26:27], v[38:39]
	v_add_f64_e32 v[4:5], v[4:5], v[12:13]
	v_mul_f64_e32 v[44:45], s[16:17], v[60:61]
	v_mul_f64_e32 v[60:61], s[18:19], v[60:61]
	;; [unrolled: 1-line block ×5, first 2 shown]
	s_wait_alu 0xfffe
	v_mul_f64_e32 v[32:33], s[20:21], v[32:33]
	v_mul_f64_e32 v[58:59], s[16:17], v[46:47]
	;; [unrolled: 1-line block ×3, first 2 shown]
	v_add_f64_e32 v[24:25], v[24:25], v[30:31]
	v_fma_f64 v[30:31], v[48:49], s[14:15], v[8:9]
	v_fma_f64 v[38:39], v[48:49], s[14:15], v[10:11]
	;; [unrolled: 1-line block ×8, first 2 shown]
	v_add_f64_e32 v[2:3], v[26:27], v[6:7]
	v_add_f64_e64 v[6:7], v[26:27], -v[6:7]
	v_fma_f64 v[28:29], v[52:53], s[18:19], v[44:45]
	v_fma_f64 v[52:53], v[52:53], s[6:7], v[60:61]
	;; [unrolled: 1-line block ×8, first 2 shown]
	v_add_f64_e32 v[0:1], v[24:25], v[4:5]
	v_add_f64_e64 v[4:5], v[24:25], -v[4:5]
	v_add_f64_e32 v[8:9], v[30:31], v[28:29]
	v_add_f64_e32 v[10:11], v[66:67], v[52:53]
	;; [unrolled: 1-line block ×8, first 2 shown]
	v_add_f64_e64 v[24:25], v[30:31], -v[28:29]
	v_add_f64_e64 v[26:27], v[66:67], -v[52:53]
	;; [unrolled: 1-line block ×8, first 2 shown]
	ds_store_b128 v254, v[0:3]
	ds_store_b128 v254, v[8:11] offset:272
	ds_store_b128 v254, v[12:15] offset:544
	;; [unrolled: 1-line block ×9, first 2 shown]
	global_wb scope:SCOPE_SE
	s_wait_dscnt 0x0
	s_barrier_signal -1
	s_barrier_wait -1
	global_inv scope:SCOPE_SE
	ds_load_b128 v[0:3], v255 offset:8160
	ds_load_b128 v[4:7], v255 offset:13600
	;; [unrolled: 1-line block ×4, first 2 shown]
	s_clause 0x3
	scratch_load_b128 v[76:79], off, off offset:56 th:TH_LOAD_LU
	scratch_load_b128 v[80:83], off, off offset:72 th:TH_LOAD_LU
	;; [unrolled: 1-line block ×4, first 2 shown]
	ds_load_b128 v[16:19], v255 offset:2720
	ds_load_b128 v[20:23], v255 offset:5440
	s_wait_dscnt 0x1
	v_mul_f64_e32 v[36:37], v[98:99], v[16:17]
	v_mul_f64_e32 v[62:63], v[98:99], v[18:19]
	s_delay_alu instid0(VALU_DEP_2) | instskip(NEXT) | instid1(VALU_DEP_2)
	v_fma_f64 v[18:19], v[96:97], v[18:19], -v[36:37]
	v_fma_f64 v[16:17], v[96:97], v[16:17], v[62:63]
	s_wait_loadcnt 0x3
	v_mul_f64_e32 v[24:25], v[78:79], v[0:1]
	s_wait_loadcnt 0x2
	v_mul_f64_e32 v[28:29], v[82:83], v[8:9]
	;; [unrolled: 2-line block ×4, first 2 shown]
	v_mul_f64_e32 v[40:41], v[86:87], v[6:7]
	v_mul_f64_e32 v[42:43], v[82:83], v[10:11]
	v_mul_f64_e32 v[44:45], v[90:91], v[14:15]
	v_mul_f64_e32 v[38:39], v[78:79], v[2:3]
	v_fma_f64 v[46:47], v[76:77], v[2:3], -v[24:25]
	v_fma_f64 v[10:11], v[80:81], v[10:11], -v[28:29]
	;; [unrolled: 1-line block ×4, first 2 shown]
	ds_load_b128 v[24:27], v255 offset:10880
	ds_load_b128 v[28:31], v255 offset:16320
	;; [unrolled: 1-line block ×3, first 2 shown]
	s_clause 0x2
	scratch_load_b128 v[72:75], off, off offset:40 th:TH_LOAD_LU
	scratch_load_b128 v[68:71], off, off offset:24 th:TH_LOAD_LU
	;; [unrolled: 1-line block ×3, first 2 shown]
	v_fma_f64 v[38:39], v[76:77], v[0:1], v[38:39]
	v_fma_f64 v[4:5], v[84:85], v[4:5], v[40:41]
	;; [unrolled: 1-line block ×4, first 2 shown]
	s_wait_dscnt 0x0
	v_mul_f64_e32 v[56:57], v[252:253], v[34:35]
	v_mul_f64_e32 v[60:61], v[252:253], v[32:33]
	v_add_f64_e32 v[0:1], v[6:7], v[10:11]
	v_add_f64_e32 v[36:37], v[46:47], v[14:15]
	v_add_f64_e64 v[62:63], v[46:47], -v[6:7]
	v_add_f64_e64 v[84:85], v[38:39], -v[4:5]
	v_add_f64_e32 v[40:41], v[4:5], v[8:9]
	v_add_f64_e32 v[42:43], v[38:39], v[12:13]
	v_add_f64_e64 v[44:45], v[38:39], -v[12:13]
	v_add_f64_e64 v[86:87], v[12:13], -v[8:9]
	;; [unrolled: 1-line block ×3, first 2 shown]
	v_fma_f64 v[32:33], v[250:251], v[32:33], v[56:57]
	v_fma_f64 v[34:35], v[250:251], v[34:35], -v[60:61]
	v_add_f64_e64 v[60:61], v[46:47], -v[14:15]
	v_fma_f64 v[36:37], v[36:37], -0.5, v[18:19]
	v_fma_f64 v[40:41], v[40:41], -0.5, v[16:17]
	;; [unrolled: 1-line block ×3, first 2 shown]
	v_add_f64_e32 v[16:17], v[16:17], v[38:39]
	v_add_f64_e64 v[38:39], v[4:5], -v[38:39]
	s_delay_alu instid0(VALU_DEP_1)
	v_add_f64_e32 v[38:39], v[38:39], v[88:89]
	s_wait_loadcnt 0x2
	v_mul_f64_e32 v[2:3], v[74:75], v[22:23]
	v_mul_f64_e32 v[48:49], v[74:75], v[20:21]
	s_wait_loadcnt 0x1
	v_mul_f64_e32 v[50:51], v[70:71], v[26:27]
	v_mul_f64_e32 v[52:53], v[70:71], v[24:25]
	s_wait_loadcnt 0x0
	v_mul_f64_e32 v[54:55], v[66:67], v[30:31]
	v_mul_f64_e32 v[58:59], v[66:67], v[28:29]
	v_add_f64_e64 v[66:67], v[6:7], -v[46:47]
	v_add_f64_e64 v[70:71], v[6:7], -v[10:11]
	v_fma_f64 v[20:21], v[72:73], v[20:21], v[2:3]
	v_fma_f64 v[22:23], v[72:73], v[22:23], -v[48:49]
	v_fma_f64 v[24:25], v[68:69], v[24:25], v[50:51]
	v_fma_f64 v[26:27], v[68:69], v[26:27], -v[52:53]
	;; [unrolled: 2-line block ×3, first 2 shown]
	v_fma_f64 v[50:51], v[0:1], -0.5, v[18:19]
	v_add_f64_e64 v[48:49], v[4:5], -v[8:9]
	v_add_f64_e64 v[64:65], v[14:15], -v[10:11]
	;; [unrolled: 1-line block ×3, first 2 shown]
	ds_load_b128 v[0:3], v255
	v_add_f64_e32 v[18:19], v[18:19], v[46:47]
	v_add_f64_e32 v[4:5], v[16:17], v[4:5]
	v_add_f64_e32 v[16:17], v[84:85], v[86:87]
	v_add_f64_e32 v[54:55], v[20:21], v[32:33]
	v_add_f64_e32 v[58:59], v[22:23], v[34:35]
	s_wait_dscnt 0x0
	v_add_f64_e32 v[76:77], v[0:1], v[20:21]
	v_add_f64_e32 v[82:83], v[2:3], v[22:23]
	;; [unrolled: 1-line block ×4, first 2 shown]
	v_fma_f64 v[72:73], v[44:45], s[4:5], v[50:51]
	v_fma_f64 v[74:75], v[48:49], s[10:11], v[36:37]
	;; [unrolled: 1-line block ×4, first 2 shown]
	v_add_f64_e64 v[78:79], v[22:23], -v[34:35]
	v_add_f64_e64 v[80:81], v[26:27], -v[30:31]
	;; [unrolled: 1-line block ×4, first 2 shown]
	v_add_f64_e32 v[6:7], v[18:19], v[6:7]
	v_add_f64_e64 v[92:93], v[34:35], -v[30:31]
	v_add_f64_e64 v[94:95], v[30:31], -v[34:35]
	v_add_f64_e32 v[4:5], v[4:5], v[8:9]
	v_add_f64_e32 v[26:27], v[82:83], v[26:27]
	v_fma_f64 v[46:47], v[52:53], -0.5, v[0:1]
	v_add_f64_e64 v[52:53], v[20:21], -v[32:33]
	v_fma_f64 v[0:1], v[54:55], -0.5, v[0:1]
	v_add_f64_e64 v[54:55], v[24:25], -v[28:29]
	v_fma_f64 v[56:57], v[56:57], -0.5, v[2:3]
	v_fma_f64 v[2:3], v[58:59], -0.5, v[2:3]
	v_add_f64_e32 v[58:59], v[62:63], v[64:65]
	v_add_f64_e32 v[62:63], v[66:67], v[68:69]
	v_fma_f64 v[64:65], v[60:61], s[10:11], v[40:41]
	v_fma_f64 v[40:41], v[60:61], s[4:5], v[40:41]
	;; [unrolled: 1-line block ×8, first 2 shown]
	v_add_f64_e64 v[48:49], v[20:21], -v[24:25]
	v_add_f64_e64 v[20:21], v[24:25], -v[20:21]
	v_add_f64_e32 v[24:25], v[76:77], v[24:25]
	v_add_f64_e64 v[50:51], v[32:33], -v[28:29]
	v_add_f64_e64 v[74:75], v[28:29], -v[32:33]
	v_add_f64_e32 v[6:7], v[6:7], v[10:11]
	v_add_f64_e32 v[22:23], v[22:23], v[94:95]
	;; [unrolled: 1-line block ×4, first 2 shown]
	v_fma_f64 v[18:19], v[78:79], s[10:11], v[46:47]
	v_fma_f64 v[46:47], v[78:79], s[4:5], v[46:47]
	;; [unrolled: 1-line block ×16, first 2 shown]
	v_add_f64_e32 v[24:25], v[24:25], v[28:29]
	v_add_f64_e32 v[48:49], v[48:49], v[50:51]
	;; [unrolled: 1-line block ×6, first 2 shown]
	v_fma_f64 v[8:9], v[80:81], s[16:17], v[18:19]
	v_fma_f64 v[10:11], v[80:81], s[6:7], v[46:47]
	v_fma_f64 v[18:19], v[78:79], s[16:17], v[76:77]
	v_fma_f64 v[0:1], v[78:79], s[6:7], v[0:1]
	v_fma_f64 v[28:29], v[54:55], s[6:7], v[82:83]
	v_fma_f64 v[46:47], v[52:53], s[6:7], v[84:85]
	v_fma_f64 v[2:3], v[52:53], s[16:17], v[2:3]
	v_fma_f64 v[30:31], v[54:55], s[16:17], v[56:57]
	v_fma_f64 v[52:53], v[16:17], s[14:15], v[64:65]
	v_fma_f64 v[16:17], v[16:17], s[14:15], v[40:41]
	v_fma_f64 v[40:41], v[38:39], s[14:15], v[66:67]
	v_fma_f64 v[38:39], v[38:39], s[14:15], v[42:43]
	v_mul_f64_e32 v[42:43], s[16:17], v[60:61]
	v_mul_f64_e32 v[60:61], s[18:19], v[60:61]
	;; [unrolled: 1-line block ×8, first 2 shown]
	v_add_f64_e32 v[24:25], v[24:25], v[32:33]
	v_fma_f64 v[32:33], v[48:49], s[14:15], v[8:9]
	v_fma_f64 v[34:35], v[48:49], s[14:15], v[10:11]
	;; [unrolled: 1-line block ×8, first 2 shown]
	v_add_f64_e32 v[2:3], v[26:27], v[6:7]
	v_add_f64_e64 v[6:7], v[26:27], -v[6:7]
	v_fma_f64 v[28:29], v[52:53], s[18:19], v[42:43]
	v_fma_f64 v[52:53], v[52:53], s[6:7], v[60:61]
	;; [unrolled: 1-line block ×8, first 2 shown]
	v_add_f64_e32 v[0:1], v[24:25], v[4:5]
	v_add_f64_e64 v[4:5], v[24:25], -v[4:5]
	v_add_f64_e32 v[8:9], v[32:33], v[28:29]
	v_add_f64_e32 v[10:11], v[66:67], v[52:53]
	;; [unrolled: 1-line block ×8, first 2 shown]
	v_add_f64_e64 v[24:25], v[32:33], -v[28:29]
	v_add_f64_e64 v[26:27], v[66:67], -v[52:53]
	;; [unrolled: 1-line block ×8, first 2 shown]
	ds_store_b128 v255, v[0:3]
	ds_store_b128 v255, v[8:11] offset:2720
	ds_store_b128 v255, v[12:15] offset:5440
	;; [unrolled: 1-line block ×9, first 2 shown]
	global_wb scope:SCOPE_SE
	s_wait_dscnt 0x0
	s_barrier_signal -1
	s_barrier_wait -1
	global_inv scope:SCOPE_SE
	s_and_b32 exec_lo, exec_lo, vcc_lo
	s_cbranch_execz .LBB0_15
; %bb.14:
	global_load_b128 v[0:3], v255, s[8:9]
	ds_load_b128 v[4:7], v255
	ds_load_b128 v[8:11], v255 offset:1600
	ds_load_b128 v[12:15], v255 offset:25600
	s_mov_b32 s4, 0xace01346
	s_mov_b32 s5, 0x3f434679
	s_wait_loadcnt_dscnt 0x2
	v_mul_f64_e32 v[16:17], v[6:7], v[2:3]
	v_mul_f64_e32 v[2:3], v[4:5], v[2:3]
	s_delay_alu instid0(VALU_DEP_2) | instskip(NEXT) | instid1(VALU_DEP_2)
	v_fma_f64 v[4:5], v[4:5], v[0:1], v[16:17]
	v_fma_f64 v[2:3], v[0:1], v[6:7], -v[2:3]
	scratch_load_b64 v[0:1], off, off th:TH_LOAD_LU ; 8-byte Folded Reload
	v_mad_co_u64_u32 v[16:17], null, s0, v164, 0
	s_wait_alu 0xfffe
	v_mul_f64_e32 v[2:3], s[4:5], v[2:3]
	s_wait_loadcnt 0x0
	v_mov_b32_e32 v18, v0
	v_mul_f64_e32 v[0:1], s[4:5], v[4:5]
	s_delay_alu instid0(VALU_DEP_4) | instskip(NEXT) | instid1(VALU_DEP_3)
	v_mov_b32_e32 v5, v17
	v_mad_co_u64_u32 v[6:7], null, s2, v18, 0
	s_delay_alu instid0(VALU_DEP_1) | instskip(NEXT) | instid1(VALU_DEP_1)
	v_mov_b32_e32 v4, v7
	v_mad_co_u64_u32 v[17:18], null, s3, v18, v[4:5]
	s_delay_alu instid0(VALU_DEP_3) | instskip(SKIP_1) | instid1(VALU_DEP_2)
	v_mad_co_u64_u32 v[4:5], null, s1, v164, v[5:6]
	s_mul_u64 s[0:1], s[0:1], 0x640
	v_mov_b32_e32 v7, v17
	s_delay_alu instid0(VALU_DEP_2) | instskip(NEXT) | instid1(VALU_DEP_2)
	v_mov_b32_e32 v17, v4
	v_lshlrev_b64_e32 v[4:5], 4, v[6:7]
	s_delay_alu instid0(VALU_DEP_2) | instskip(NEXT) | instid1(VALU_DEP_2)
	v_lshlrev_b64_e32 v[6:7], 4, v[16:17]
	v_add_co_u32 v4, vcc_lo, s12, v4
	s_delay_alu instid0(VALU_DEP_3) | instskip(NEXT) | instid1(VALU_DEP_2)
	v_add_co_ci_u32_e32 v5, vcc_lo, s13, v5, vcc_lo
	v_add_co_u32 v4, vcc_lo, v4, v6
	s_wait_alu 0xfffd
	s_delay_alu instid0(VALU_DEP_2) | instskip(SKIP_1) | instid1(VALU_DEP_2)
	v_add_co_ci_u32_e32 v5, vcc_lo, v5, v7, vcc_lo
	s_wait_alu 0xfffe
	v_add_co_u32 v16, vcc_lo, v4, s0
	global_store_b128 v[4:5], v[0:3], off
	global_load_b128 v[0:3], v255, s[8:9] offset:1600
	s_wait_alu 0xfffd
	v_add_co_ci_u32_e32 v17, vcc_lo, s1, v5, vcc_lo
	s_wait_loadcnt_dscnt 0x1
	v_mul_f64_e32 v[6:7], v[10:11], v[2:3]
	v_mul_f64_e32 v[2:3], v[8:9], v[2:3]
	s_delay_alu instid0(VALU_DEP_2) | instskip(NEXT) | instid1(VALU_DEP_2)
	v_fma_f64 v[6:7], v[8:9], v[0:1], v[6:7]
	v_fma_f64 v[2:3], v[0:1], v[10:11], -v[2:3]
	s_delay_alu instid0(VALU_DEP_2) | instskip(NEXT) | instid1(VALU_DEP_2)
	v_mul_f64_e32 v[0:1], s[4:5], v[6:7]
	v_mul_f64_e32 v[2:3], s[4:5], v[2:3]
	global_store_b128 v[16:17], v[0:3], off
	global_load_b128 v[0:3], v255, s[8:9] offset:3200
	ds_load_b128 v[4:7], v255 offset:3200
	ds_load_b128 v[8:11], v255 offset:4800
	s_wait_loadcnt_dscnt 0x1
	v_mul_f64_e32 v[18:19], v[6:7], v[2:3]
	v_mul_f64_e32 v[2:3], v[4:5], v[2:3]
	s_delay_alu instid0(VALU_DEP_2) | instskip(NEXT) | instid1(VALU_DEP_2)
	v_fma_f64 v[4:5], v[4:5], v[0:1], v[18:19]
	v_fma_f64 v[2:3], v[0:1], v[6:7], -v[2:3]
	s_delay_alu instid0(VALU_DEP_2) | instskip(NEXT) | instid1(VALU_DEP_2)
	v_mul_f64_e32 v[0:1], s[4:5], v[4:5]
	v_mul_f64_e32 v[2:3], s[4:5], v[2:3]
	v_add_co_u32 v4, vcc_lo, v16, s0
	s_wait_alu 0xfffd
	v_add_co_ci_u32_e32 v5, vcc_lo, s1, v17, vcc_lo
	s_delay_alu instid0(VALU_DEP_2) | instskip(SKIP_1) | instid1(VALU_DEP_2)
	v_add_co_u32 v16, vcc_lo, v4, s0
	s_wait_alu 0xfffd
	v_add_co_ci_u32_e32 v17, vcc_lo, s1, v5, vcc_lo
	global_store_b128 v[4:5], v[0:3], off
	global_load_b128 v[0:3], v255, s[8:9] offset:4800
	s_wait_loadcnt_dscnt 0x0
	v_mul_f64_e32 v[6:7], v[10:11], v[2:3]
	v_mul_f64_e32 v[2:3], v[8:9], v[2:3]
	s_delay_alu instid0(VALU_DEP_2) | instskip(NEXT) | instid1(VALU_DEP_2)
	v_fma_f64 v[6:7], v[8:9], v[0:1], v[6:7]
	v_fma_f64 v[2:3], v[0:1], v[10:11], -v[2:3]
	s_delay_alu instid0(VALU_DEP_2) | instskip(NEXT) | instid1(VALU_DEP_2)
	v_mul_f64_e32 v[0:1], s[4:5], v[6:7]
	v_mul_f64_e32 v[2:3], s[4:5], v[2:3]
	global_store_b128 v[16:17], v[0:3], off
	global_load_b128 v[0:3], v255, s[8:9] offset:6400
	ds_load_b128 v[4:7], v255 offset:6400
	ds_load_b128 v[8:11], v255 offset:8000
	s_wait_loadcnt_dscnt 0x1
	v_mul_f64_e32 v[18:19], v[6:7], v[2:3]
	v_mul_f64_e32 v[2:3], v[4:5], v[2:3]
	s_delay_alu instid0(VALU_DEP_2) | instskip(NEXT) | instid1(VALU_DEP_2)
	v_fma_f64 v[4:5], v[4:5], v[0:1], v[18:19]
	v_fma_f64 v[2:3], v[0:1], v[6:7], -v[2:3]
	s_delay_alu instid0(VALU_DEP_2) | instskip(NEXT) | instid1(VALU_DEP_2)
	v_mul_f64_e32 v[0:1], s[4:5], v[4:5]
	v_mul_f64_e32 v[2:3], s[4:5], v[2:3]
	v_add_co_u32 v4, vcc_lo, v16, s0
	s_wait_alu 0xfffd
	v_add_co_ci_u32_e32 v5, vcc_lo, s1, v17, vcc_lo
	s_delay_alu instid0(VALU_DEP_2) | instskip(SKIP_1) | instid1(VALU_DEP_2)
	v_add_co_u32 v16, vcc_lo, v4, s0
	s_wait_alu 0xfffd
	v_add_co_ci_u32_e32 v17, vcc_lo, s1, v5, vcc_lo
	global_store_b128 v[4:5], v[0:3], off
	global_load_b128 v[0:3], v255, s[8:9] offset:8000
	;; [unrolled: 31-line block ×6, first 2 shown]
	s_wait_loadcnt_dscnt 0x0
	v_mul_f64_e32 v[6:7], v[10:11], v[2:3]
	v_mul_f64_e32 v[2:3], v[8:9], v[2:3]
	s_delay_alu instid0(VALU_DEP_2) | instskip(NEXT) | instid1(VALU_DEP_2)
	v_fma_f64 v[6:7], v[8:9], v[0:1], v[6:7]
	v_fma_f64 v[2:3], v[0:1], v[10:11], -v[2:3]
	s_delay_alu instid0(VALU_DEP_2) | instskip(NEXT) | instid1(VALU_DEP_2)
	v_mul_f64_e32 v[0:1], s[4:5], v[6:7]
	v_mul_f64_e32 v[2:3], s[4:5], v[2:3]
	global_store_b128 v[16:17], v[0:3], off
	global_load_b128 v[0:3], v255, s[8:9] offset:22400
	ds_load_b128 v[4:7], v255 offset:22400
	ds_load_b128 v[8:11], v255 offset:24000
	s_wait_loadcnt_dscnt 0x1
	v_mul_f64_e32 v[18:19], v[6:7], v[2:3]
	v_mul_f64_e32 v[2:3], v[4:5], v[2:3]
	s_delay_alu instid0(VALU_DEP_2) | instskip(NEXT) | instid1(VALU_DEP_2)
	v_fma_f64 v[4:5], v[4:5], v[0:1], v[18:19]
	v_fma_f64 v[2:3], v[0:1], v[6:7], -v[2:3]
	s_delay_alu instid0(VALU_DEP_2) | instskip(NEXT) | instid1(VALU_DEP_2)
	v_mul_f64_e32 v[0:1], s[4:5], v[4:5]
	v_mul_f64_e32 v[2:3], s[4:5], v[2:3]
	v_add_co_u32 v4, vcc_lo, v16, s0
	s_wait_alu 0xfffd
	v_add_co_ci_u32_e32 v5, vcc_lo, s1, v17, vcc_lo
	global_store_b128 v[4:5], v[0:3], off
	global_load_b128 v[0:3], v255, s[8:9] offset:24000
	v_add_co_u32 v4, vcc_lo, v4, s0
	s_wait_alu 0xfffd
	v_add_co_ci_u32_e32 v5, vcc_lo, s1, v5, vcc_lo
	s_wait_loadcnt_dscnt 0x0
	v_mul_f64_e32 v[6:7], v[10:11], v[2:3]
	v_mul_f64_e32 v[2:3], v[8:9], v[2:3]
	s_delay_alu instid0(VALU_DEP_2) | instskip(NEXT) | instid1(VALU_DEP_2)
	v_fma_f64 v[6:7], v[8:9], v[0:1], v[6:7]
	v_fma_f64 v[2:3], v[0:1], v[10:11], -v[2:3]
	s_delay_alu instid0(VALU_DEP_2) | instskip(NEXT) | instid1(VALU_DEP_2)
	v_mul_f64_e32 v[0:1], s[4:5], v[6:7]
	v_mul_f64_e32 v[2:3], s[4:5], v[2:3]
	global_store_b128 v[4:5], v[0:3], off
	global_load_b128 v[0:3], v255, s[8:9] offset:25600
	v_add_co_u32 v4, vcc_lo, v4, s0
	s_wait_alu 0xfffd
	v_add_co_ci_u32_e32 v5, vcc_lo, s1, v5, vcc_lo
	s_wait_loadcnt 0x0
	v_mul_f64_e32 v[6:7], v[14:15], v[2:3]
	v_mul_f64_e32 v[2:3], v[12:13], v[2:3]
	s_delay_alu instid0(VALU_DEP_2) | instskip(NEXT) | instid1(VALU_DEP_2)
	v_fma_f64 v[6:7], v[12:13], v[0:1], v[6:7]
	v_fma_f64 v[2:3], v[0:1], v[14:15], -v[2:3]
	s_delay_alu instid0(VALU_DEP_2) | instskip(NEXT) | instid1(VALU_DEP_2)
	v_mul_f64_e32 v[0:1], s[4:5], v[6:7]
	v_mul_f64_e32 v[2:3], s[4:5], v[2:3]
	global_store_b128 v[4:5], v[0:3], off
.LBB0_15:
	s_endpgm
	.section	.rodata,"a",@progbits
	.p2align	6, 0x0
	.amdhsa_kernel bluestein_single_fwd_len1700_dim1_dp_op_CI_CI
		.amdhsa_group_segment_fixed_size 27200
		.amdhsa_private_segment_fixed_size 648
		.amdhsa_kernarg_size 104
		.amdhsa_user_sgpr_count 2
		.amdhsa_user_sgpr_dispatch_ptr 0
		.amdhsa_user_sgpr_queue_ptr 0
		.amdhsa_user_sgpr_kernarg_segment_ptr 1
		.amdhsa_user_sgpr_dispatch_id 0
		.amdhsa_user_sgpr_private_segment_size 0
		.amdhsa_wavefront_size32 1
		.amdhsa_uses_dynamic_stack 0
		.amdhsa_enable_private_segment 1
		.amdhsa_system_sgpr_workgroup_id_x 1
		.amdhsa_system_sgpr_workgroup_id_y 0
		.amdhsa_system_sgpr_workgroup_id_z 0
		.amdhsa_system_sgpr_workgroup_info 0
		.amdhsa_system_vgpr_workitem_id 0
		.amdhsa_next_free_vgpr 256
		.amdhsa_next_free_sgpr 60
		.amdhsa_reserve_vcc 1
		.amdhsa_float_round_mode_32 0
		.amdhsa_float_round_mode_16_64 0
		.amdhsa_float_denorm_mode_32 3
		.amdhsa_float_denorm_mode_16_64 3
		.amdhsa_fp16_overflow 0
		.amdhsa_workgroup_processor_mode 1
		.amdhsa_memory_ordered 1
		.amdhsa_forward_progress 0
		.amdhsa_round_robin_scheduling 0
		.amdhsa_exception_fp_ieee_invalid_op 0
		.amdhsa_exception_fp_denorm_src 0
		.amdhsa_exception_fp_ieee_div_zero 0
		.amdhsa_exception_fp_ieee_overflow 0
		.amdhsa_exception_fp_ieee_underflow 0
		.amdhsa_exception_fp_ieee_inexact 0
		.amdhsa_exception_int_div_zero 0
	.end_amdhsa_kernel
	.text
.Lfunc_end0:
	.size	bluestein_single_fwd_len1700_dim1_dp_op_CI_CI, .Lfunc_end0-bluestein_single_fwd_len1700_dim1_dp_op_CI_CI
                                        ; -- End function
	.section	.AMDGPU.csdata,"",@progbits
; Kernel info:
; codeLenInByte = 24356
; NumSgprs: 62
; NumVgprs: 256
; ScratchSize: 648
; MemoryBound: 0
; FloatMode: 240
; IeeeMode: 1
; LDSByteSize: 27200 bytes/workgroup (compile time only)
; SGPRBlocks: 7
; VGPRBlocks: 31
; NumSGPRsForWavesPerEU: 62
; NumVGPRsForWavesPerEU: 256
; Occupancy: 5
; WaveLimiterHint : 1
; COMPUTE_PGM_RSRC2:SCRATCH_EN: 1
; COMPUTE_PGM_RSRC2:USER_SGPR: 2
; COMPUTE_PGM_RSRC2:TRAP_HANDLER: 0
; COMPUTE_PGM_RSRC2:TGID_X_EN: 1
; COMPUTE_PGM_RSRC2:TGID_Y_EN: 0
; COMPUTE_PGM_RSRC2:TGID_Z_EN: 0
; COMPUTE_PGM_RSRC2:TIDIG_COMP_CNT: 0
	.text
	.p2alignl 7, 3214868480
	.fill 96, 4, 3214868480
	.type	__hip_cuid_167a4faae5f99e76,@object ; @__hip_cuid_167a4faae5f99e76
	.section	.bss,"aw",@nobits
	.globl	__hip_cuid_167a4faae5f99e76
__hip_cuid_167a4faae5f99e76:
	.byte	0                               ; 0x0
	.size	__hip_cuid_167a4faae5f99e76, 1

	.ident	"AMD clang version 19.0.0git (https://github.com/RadeonOpenCompute/llvm-project roc-6.4.0 25133 c7fe45cf4b819c5991fe208aaa96edf142730f1d)"
	.section	".note.GNU-stack","",@progbits
	.addrsig
	.addrsig_sym __hip_cuid_167a4faae5f99e76
	.amdgpu_metadata
---
amdhsa.kernels:
  - .args:
      - .actual_access:  read_only
        .address_space:  global
        .offset:         0
        .size:           8
        .value_kind:     global_buffer
      - .actual_access:  read_only
        .address_space:  global
        .offset:         8
        .size:           8
        .value_kind:     global_buffer
      - .actual_access:  read_only
        .address_space:  global
        .offset:         16
        .size:           8
        .value_kind:     global_buffer
      - .actual_access:  read_only
        .address_space:  global
        .offset:         24
        .size:           8
        .value_kind:     global_buffer
      - .actual_access:  read_only
        .address_space:  global
        .offset:         32
        .size:           8
        .value_kind:     global_buffer
      - .offset:         40
        .size:           8
        .value_kind:     by_value
      - .address_space:  global
        .offset:         48
        .size:           8
        .value_kind:     global_buffer
      - .address_space:  global
        .offset:         56
        .size:           8
        .value_kind:     global_buffer
      - .address_space:  global
        .offset:         64
        .size:           8
        .value_kind:     global_buffer
      - .address_space:  global
        .offset:         72
        .size:           8
        .value_kind:     global_buffer
      - .offset:         80
        .size:           4
        .value_kind:     by_value
      - .address_space:  global
        .offset:         88
        .size:           8
        .value_kind:     global_buffer
      - .address_space:  global
        .offset:         96
        .size:           8
        .value_kind:     global_buffer
    .group_segment_fixed_size: 27200
    .kernarg_segment_align: 8
    .kernarg_segment_size: 104
    .language:       OpenCL C
    .language_version:
      - 2
      - 0
    .max_flat_workgroup_size: 170
    .name:           bluestein_single_fwd_len1700_dim1_dp_op_CI_CI
    .private_segment_fixed_size: 648
    .sgpr_count:     62
    .sgpr_spill_count: 0
    .symbol:         bluestein_single_fwd_len1700_dim1_dp_op_CI_CI.kd
    .uniform_work_group_size: 1
    .uses_dynamic_stack: false
    .vgpr_count:     256
    .vgpr_spill_count: 223
    .wavefront_size: 32
    .workgroup_processor_mode: 1
amdhsa.target:   amdgcn-amd-amdhsa--gfx1201
amdhsa.version:
  - 1
  - 2
...

	.end_amdgpu_metadata
